;; amdgpu-corpus repo=ROCm/rocFFT kind=compiled arch=gfx950 opt=O3
	.text
	.amdgcn_target "amdgcn-amd-amdhsa--gfx950"
	.amdhsa_code_object_version 6
	.protected	fft_rtc_fwd_len289_factors_17_17_wgs_119_tpt_17_dp_op_CI_CI_sbrc_aligned_dirReg ; -- Begin function fft_rtc_fwd_len289_factors_17_17_wgs_119_tpt_17_dp_op_CI_CI_sbrc_aligned_dirReg
	.globl	fft_rtc_fwd_len289_factors_17_17_wgs_119_tpt_17_dp_op_CI_CI_sbrc_aligned_dirReg
	.p2align	8
	.type	fft_rtc_fwd_len289_factors_17_17_wgs_119_tpt_17_dp_op_CI_CI_sbrc_aligned_dirReg,@function
fft_rtc_fwd_len289_factors_17_17_wgs_119_tpt_17_dp_op_CI_CI_sbrc_aligned_dirReg: ; @fft_rtc_fwd_len289_factors_17_17_wgs_119_tpt_17_dp_op_CI_CI_sbrc_aligned_dirReg
; %bb.0:
	s_load_dwordx8 s[8:15], s[0:1], 0x0
	s_mov_b32 s30, 0
	s_mov_b64 s[36:37], 2
	s_mov_b32 s27, s30
	s_waitcnt lgkmcnt(0)
	s_load_dword s3, s[12:13], 0x8
	s_load_dwordx2 s[6:7], s[0:1], 0x60
	s_load_dwordx2 s[28:29], s[0:1], 0x20
	s_load_dwordx4 s[20:23], s[14:15], 0x0
	s_waitcnt lgkmcnt(0)
	s_add_i32 s3, s3, -1
	s_mul_hi_u32 s4, s3, 0x24924925
	s_sub_i32 s3, s3, s4
	s_lshr_b32 s3, s3, 1
	s_add_i32 s3, s3, s4
	s_lshr_b32 s3, s3, 2
	s_add_i32 s3, s3, 1
	v_cvt_f32_u32_e32 v1, s3
	s_load_dwordx4 s[16:19], s[28:29], 0x0
	s_waitcnt lgkmcnt(0)
	s_sub_i32 s19, 0, s3
	v_cmp_gt_u64_e64 s[4:5], s[10:11], 2
	v_rcp_iflag_f32_e32 v1, v1
	s_nop 0
	v_mul_f32_e32 v1, 0x4f7ffffe, v1
	v_cvt_u32_f32_e32 v1, v1
	s_nop 0
	v_readfirstlane_b32 s23, v1
	s_mul_i32 s19, s19, s23
	s_mul_hi_u32 s19, s23, s19
	s_add_i32 s23, s23, s19
	s_mul_hi_u32 s19, s2, s23
	s_mul_i32 s23, s19, s3
	s_sub_i32 s23, s2, s23
	s_add_i32 s24, s19, 1
	s_sub_i32 s25, s23, s3
	s_cmp_ge_u32 s23, s3
	s_cselect_b32 s19, s24, s19
	s_cselect_b32 s23, s25, s23
	s_add_i32 s24, s19, 1
	s_cmp_ge_u32 s23, s3
	s_cselect_b32 s19, s24, s19
	s_and_b64 vcc, exec, s[4:5]
	s_mul_i32 s4, s19, s3
	s_sub_i32 s4, s2, s4
	s_mul_i32 s4, s4, 7
	s_mul_i32 s5, s17, s4
	s_mul_hi_u32 s23, s16, s4
	s_mul_i32 s26, s4, s22
	s_mul_i32 s24, s16, s4
	s_add_i32 s25, s23, s5
	s_cbranch_vccz .LBB0_8
; %bb.1:
	s_mov_b32 s34, 3
	v_mov_b64_e32 v[2:3], s[10:11]
.LBB0_2:                                ; =>This Inner Loop Header: Depth=1
	s_lshl_b64 s[36:37], s[36:37], 3
	s_add_u32 s4, s12, s36
	s_addc_u32 s5, s13, s37
	s_load_dwordx2 s[38:39], s[4:5], 0x0
	s_waitcnt lgkmcnt(0)
	s_mov_b32 s31, s39
	s_cmp_lg_u64 s[30:31], 0
	s_cbranch_scc0 .LBB0_7
; %bb.3:                                ;   in Loop: Header=BB0_2 Depth=1
	v_cvt_f32_u32_e32 v1, s38
	v_cvt_f32_u32_e32 v4, s39
	s_sub_u32 s4, 0, s38
	s_subb_u32 s5, 0, s39
	v_fmac_f32_e32 v1, 0x4f800000, v4
	v_rcp_f32_e32 v1, v1
	s_nop 0
	v_mul_f32_e32 v1, 0x5f7ffffc, v1
	v_mul_f32_e32 v4, 0x2f800000, v1
	v_trunc_f32_e32 v4, v4
	v_fmac_f32_e32 v1, 0xcf800000, v4
	v_cvt_u32_f32_e32 v4, v4
	v_cvt_u32_f32_e32 v1, v1
	v_readfirstlane_b32 s23, v4
	v_readfirstlane_b32 s31, v1
	s_mul_i32 s33, s4, s23
	s_mul_hi_u32 s40, s4, s31
	s_mul_i32 s35, s5, s31
	s_add_i32 s33, s40, s33
	s_mul_i32 s41, s4, s31
	s_add_i32 s33, s33, s35
	s_mul_hi_u32 s35, s31, s33
	s_mul_i32 s40, s31, s33
	s_mul_hi_u32 s31, s31, s41
	s_add_u32 s31, s31, s40
	s_addc_u32 s35, 0, s35
	s_mul_hi_u32 s42, s23, s41
	s_mul_i32 s41, s23, s41
	s_add_u32 s31, s31, s41
	s_mul_hi_u32 s40, s23, s33
	s_addc_u32 s31, s35, s42
	s_addc_u32 s35, s40, 0
	s_mul_i32 s33, s23, s33
	s_add_u32 s31, s31, s33
	s_addc_u32 s33, 0, s35
	v_add_co_u32_e32 v1, vcc, s31, v1
	s_cmp_lg_u64 vcc, 0
	s_addc_u32 s23, s23, s33
	v_readfirstlane_b32 s33, v1
	s_mul_i32 s31, s4, s23
	s_mul_hi_u32 s35, s4, s33
	s_add_i32 s31, s35, s31
	s_mul_i32 s5, s5, s33
	s_add_i32 s31, s31, s5
	s_mul_i32 s4, s4, s33
	s_mul_hi_u32 s35, s23, s4
	s_mul_i32 s40, s23, s4
	s_mul_i32 s42, s33, s31
	s_mul_hi_u32 s4, s33, s4
	s_mul_hi_u32 s41, s33, s31
	s_add_u32 s4, s4, s42
	s_addc_u32 s33, 0, s41
	s_add_u32 s4, s4, s40
	s_mul_hi_u32 s5, s23, s31
	s_addc_u32 s4, s33, s35
	s_addc_u32 s5, s5, 0
	s_mul_i32 s31, s23, s31
	s_add_u32 s4, s4, s31
	s_addc_u32 s5, 0, s5
	v_add_co_u32_e32 v1, vcc, s4, v1
	s_cmp_lg_u64 vcc, 0
	s_addc_u32 s4, s23, s5
	v_readfirstlane_b32 s23, v1
	s_mul_hi_u32 s5, s19, s4
	s_mul_i32 s4, s19, s4
	s_mul_hi_u32 s23, s19, s23
	s_add_u32 s4, s23, s4
	s_addc_u32 s23, 0, s5
	s_mul_i32 s4, s39, s23
	s_mul_hi_u32 s5, s38, s23
	s_add_i32 s31, s5, s4
	s_mul_i32 s5, s38, s23
	v_mov_b32_e32 v1, s5
	s_sub_i32 s4, 0, s31
	v_sub_co_u32_e32 v1, vcc, s19, v1
	s_cmp_lg_u64 vcc, 0
	s_subb_u32 s33, s4, s39
	v_subrev_co_u32_e64 v4, s[4:5], s38, v1
	s_cmp_lg_u64 s[4:5], 0
	s_subb_u32 s4, s33, 0
	s_cmp_ge_u32 s4, s39
	v_readfirstlane_b32 s33, v4
	s_cselect_b32 s5, -1, 0
	s_cmp_ge_u32 s33, s38
	s_cselect_b32 s33, -1, 0
	s_cmp_eq_u32 s4, s39
	s_cselect_b32 s4, s33, s5
	s_add_u32 s5, s23, 1
	s_addc_u32 s33, 0, 0
	s_add_u32 s35, s23, 2
	s_addc_u32 s40, 0, 0
	s_cmp_lg_u32 s4, 0
	s_cselect_b32 s4, s35, s5
	s_cselect_b32 s5, s40, s33
	s_cmp_lg_u64 vcc, 0
	s_subb_u32 s31, 0, s31
	s_cmp_ge_u32 s31, s39
	v_readfirstlane_b32 s35, v1
	s_cselect_b32 s33, -1, 0
	s_cmp_ge_u32 s35, s38
	s_cselect_b32 s35, -1, 0
	s_cmp_eq_u32 s31, s39
	s_cselect_b32 s31, s35, s33
	s_cmp_lg_u32 s31, 0
	s_cselect_b32 s5, s5, 0
	s_cselect_b32 s4, s4, s23
	s_cbranch_execnz .LBB0_5
.LBB0_4:                                ;   in Loop: Header=BB0_2 Depth=1
	v_cvt_f32_u32_e32 v1, s38
	s_sub_i32 s4, 0, s38
	v_rcp_iflag_f32_e32 v1, v1
	s_nop 0
	v_mul_f32_e32 v1, 0x4f7ffffe, v1
	v_cvt_u32_f32_e32 v1, v1
	s_nop 0
	v_readfirstlane_b32 s5, v1
	s_mul_i32 s4, s4, s5
	s_mul_hi_u32 s4, s5, s4
	s_add_i32 s5, s5, s4
	s_mul_hi_u32 s4, s19, s5
	s_mul_i32 s23, s4, s38
	s_sub_i32 s23, s19, s23
	s_add_i32 s5, s4, 1
	s_sub_i32 s31, s23, s38
	s_cmp_ge_u32 s23, s38
	s_cselect_b32 s4, s5, s4
	s_cselect_b32 s23, s31, s23
	s_add_i32 s5, s4, 1
	s_cmp_ge_u32 s23, s38
	s_cselect_b32 s4, s5, s4
	s_mov_b32 s5, s30
.LBB0_5:                                ;   in Loop: Header=BB0_2 Depth=1
	s_mul_i32 s23, s4, s39
	s_mul_hi_u32 s31, s4, s38
	s_add_i32 s23, s31, s23
	s_mul_i32 s5, s5, s38
	s_add_i32 s23, s23, s5
	s_mul_i32 s5, s4, s38
	s_sub_u32 s5, s19, s5
	s_subb_u32 s19, 0, s23
	s_add_u32 s40, s14, s36
	s_addc_u32 s41, s15, s37
	s_load_dwordx2 s[40:41], s[40:41], 0x0
	s_mov_b32 s35, s30
	v_cmp_ge_u64_e32 vcc, s[34:35], v[2:3]
	s_mul_i32 s3, s3, s38
	s_waitcnt lgkmcnt(0)
	s_mul_i32 s23, s40, s19
	s_mul_hi_u32 s31, s40, s5
	s_add_i32 s23, s31, s23
	s_mul_i32 s31, s41, s5
	s_add_i32 s23, s23, s31
	s_mul_i32 s31, s40, s5
	s_add_u32 s26, s31, s26
	s_addc_u32 s27, s23, s27
	s_add_u32 s36, s28, s36
	s_addc_u32 s37, s29, s37
	s_load_dwordx2 s[36:37], s[36:37], 0x0
	s_waitcnt lgkmcnt(0)
	s_mul_i32 s19, s36, s19
	s_mul_hi_u32 s23, s36, s5
	s_add_i32 s19, s23, s19
	s_mul_i32 s23, s37, s5
	s_add_i32 s19, s19, s23
	s_mul_i32 s5, s36, s5
	s_add_u32 s24, s5, s24
	s_addc_u32 s25, s19, s25
	s_mov_b64 s[36:37], s[34:35]
	s_add_i32 s34, s34, 1
	s_cbranch_vccnz .LBB0_9
; %bb.6:                                ;   in Loop: Header=BB0_2 Depth=1
	s_mov_b32 s19, s4
	s_branch .LBB0_2
.LBB0_7:                                ;   in Loop: Header=BB0_2 Depth=1
                                        ; implicit-def: $sgpr4_sgpr5
	s_branch .LBB0_4
.LBB0_8:
	v_mov_b32_e32 v110, s19
	s_branch .LBB0_10
.LBB0_9:
	v_cvt_f32_u32_e32 v1, s3
	s_sub_i32 s4, 0, s3
	v_rcp_iflag_f32_e32 v1, v1
	s_nop 0
	v_mul_f32_e32 v1, 0x4f7ffffe, v1
	v_cvt_u32_f32_e32 v1, v1
	v_mul_lo_u32 v2, s4, v1
	v_mul_hi_u32 v2, v1, v2
	v_add_u32_e32 v1, v1, v2
	v_mul_hi_u32 v1, s2, v1
	v_mul_lo_u32 v2, v1, s3
	v_sub_u32_e32 v2, s2, v2
	v_add_u32_e32 v3, 1, v1
	v_subrev_u32_e32 v4, s3, v2
	v_cmp_le_u32_e32 vcc, s3, v2
	s_nop 1
	v_cndmask_b32_e32 v1, v1, v3, vcc
	v_cndmask_b32_e32 v2, v2, v4, vcc
	v_add_u32_e32 v3, 1, v1
	v_cmp_le_u32_e32 vcc, s3, v2
	s_nop 1
	v_cndmask_b32_e32 v110, v1, v3, vcc
.LBB0_10:
	s_load_dwordx2 s[2:3], s[0:1], 0x58
	s_lshl_b64 s[0:1], s[10:11], 3
	s_add_u32 s4, s14, s0
	s_addc_u32 s5, s15, s1
	s_load_dwordx2 s[4:5], s[4:5], 0x0
	s_add_u32 s0, s28, s0
	s_addc_u32 s1, s29, s1
	s_movk_i32 s19, 0x121
	v_mov_b32_e32 v71, 0
	s_waitcnt lgkmcnt(0)
	v_mul_lo_u32 v1, s5, v110
	v_mul_hi_u32 v3, s4, v110
	v_mul_lo_u32 v2, s4, v110
	v_add_u32_e32 v3, v3, v1
	v_mad_u64_u32 v[4:5], s[4:5], s20, v0, 0
	v_mov_b32_e32 v6, v5
	v_lshlrev_b64 v[2:3], 4, v[2:3]
	v_mad_u64_u32 v[6:7], s[4:5], s21, v0, v[6:7]
	v_lshl_add_u64 v[2:3], s[2:3], 0, v[2:3]
	s_lshl_b64 s[2:3], s[26:27], 4
	v_add_u16_e32 v1, 0x77, v0
	v_mov_b32_e32 v5, v6
	v_lshl_add_u64 v[34:35], v[2:3], 0, s[2:3]
	v_mad_u64_u32 v[2:3], s[2:3], s20, v1, 0
	v_lshl_add_u64 v[10:11], v[4:5], 4, v[34:35]
	v_mov_b32_e32 v4, v3
	v_mad_u64_u32 v[4:5], s[2:3], s21, v1, v[4:5]
	s_mov_b32 s2, 0x16500ee
	v_mov_b32_e32 v3, v4
	v_pk_add_u16 v1, v0, s2 op_sel_hi:[0,1]
	v_lshl_add_u64 v[12:13], v[2:3], 4, v[34:35]
	global_load_dwordx4 v[6:9], v[10:11], off
	global_load_dwordx4 v[2:5], v[12:13], off
	v_and_b32_e32 v10, 0x1ff, v1
	s_movk_i32 s3, 0x717
	v_mul_u32_u24_e32 v10, 0x717, v10
	v_lshrrev_b32_e32 v14, 19, v10
	v_mul_u32_u24_sdwa v10, v1, s3 dst_sel:DWORD dst_unused:UNUSED_PAD src0_sel:WORD_1 src1_sel:DWORD
	v_lshrrev_b32_e32 v15, 19, v10
	s_mov_b32 s2, 0x5040100
	v_perm_b32 v76, v15, v14, s2
	v_pk_mul_lo_u16 v10, v76, s19 op_sel_hi:[1,0]
	v_mul_lo_u32 v70, s22, v14
	v_pk_sub_i16 v77, v1, v10
	v_mul_u32_u24_e32 v111, 0x2493, v0
	v_and_b32_e32 v1, 0xffff, v77
	v_mad_u64_u32 v[10:11], s[4:5], s20, v1, 0
	v_mov_b32_e32 v12, v11
	v_mad_u64_u32 v[12:13], s[4:5], s21, v1, v[12:13]
	v_mov_b32_e32 v11, v12
	v_lshl_add_u64 v[10:11], v[10:11], 4, v[34:35]
	v_lshrrev_b32_e32 v1, 16, v77
	v_lshl_add_u64 v[18:19], v[70:71], 4, v[10:11]
	v_mad_u64_u32 v[10:11], s[4:5], s20, v1, 0
	v_mov_b32_e32 v12, v11
	v_mad_u64_u32 v[12:13], s[4:5], s21, v1, v[12:13]
	v_mov_b32_e32 v11, v12
	s_mov_b32 s4, 0x25301dc
	v_mul_lo_u32 v70, s22, v15
	v_lshl_add_u64 v[10:11], v[10:11], 4, v[34:35]
	v_pk_add_u16 v1, v0, s4 op_sel_hi:[0,1]
	v_lshl_add_u64 v[20:21], v[70:71], 4, v[10:11]
	global_load_dwordx4 v[14:17], v[18:19], off
	global_load_dwordx4 v[10:13], v[20:21], off
	v_and_b32_e32 v18, 0x3ff, v1
	v_mul_u32_u24_e32 v18, 0x717, v18
	v_lshrrev_b32_e32 v22, 19, v18
	v_mul_u32_u24_sdwa v18, v1, s3 dst_sel:DWORD dst_unused:UNUSED_PAD src0_sel:WORD_1 src1_sel:DWORD
	v_lshrrev_b32_e32 v23, 19, v18
	v_perm_b32 v78, v23, v22, s2
	v_pk_mul_lo_u16 v18, v78, s19 op_sel_hi:[1,0]
	v_mul_lo_u32 v70, s22, v22
	v_pk_sub_i16 v79, v1, v18
	s_mov_b32 s28, 0x5d8e7cdc
	v_and_b32_e32 v1, 0xffff, v79
	v_mad_u64_u32 v[18:19], s[4:5], s20, v1, 0
	v_mov_b32_e32 v20, v19
	v_mad_u64_u32 v[20:21], s[4:5], s21, v1, v[20:21]
	v_mov_b32_e32 v19, v20
	v_lshl_add_u64 v[18:19], v[18:19], 4, v[34:35]
	v_lshrrev_b32_e32 v1, 16, v79
	v_lshl_add_u64 v[26:27], v[70:71], 4, v[18:19]
	v_mad_u64_u32 v[18:19], s[4:5], s20, v1, 0
	v_mov_b32_e32 v20, v19
	v_mad_u64_u32 v[20:21], s[4:5], s21, v1, v[20:21]
	v_mov_b32_e32 v19, v20
	s_mov_b32 s4, 0x34102ca
	v_mul_lo_u32 v70, s22, v23
	v_lshl_add_u64 v[18:19], v[18:19], 4, v[34:35]
	v_pk_add_u16 v1, v0, s4 op_sel_hi:[0,1]
	v_lshl_add_u64 v[28:29], v[70:71], 4, v[18:19]
	global_load_dwordx4 v[22:25], v[26:27], off
	global_load_dwordx4 v[18:21], v[28:29], off
	v_and_b32_e32 v26, 0x3ff, v1
	v_mul_u32_u24_e32 v26, 0x717, v26
	v_lshrrev_b32_e32 v30, 19, v26
	v_mul_u32_u24_sdwa v26, v1, s3 dst_sel:DWORD dst_unused:UNUSED_PAD src0_sel:WORD_1 src1_sel:DWORD
	v_lshrrev_b32_e32 v31, 19, v26
	v_perm_b32 v80, v31, v30, s2
	v_pk_mul_lo_u16 v26, v80, s19 op_sel_hi:[1,0]
	v_mul_lo_u32 v70, s22, v30
	v_pk_sub_i16 v81, v1, v26
	s_mov_b32 s3, 0x42f03b8
	v_and_b32_e32 v1, 0xffff, v81
	v_mad_u64_u32 v[26:27], s[4:5], s20, v1, 0
	v_mov_b32_e32 v28, v27
	v_mad_u64_u32 v[28:29], s[4:5], s21, v1, v[28:29]
	v_mov_b32_e32 v27, v28
	v_lshl_add_u64 v[26:27], v[26:27], 4, v[34:35]
	v_lshrrev_b32_e32 v1, 16, v81
	v_lshl_add_u64 v[36:37], v[70:71], 4, v[26:27]
	v_mad_u64_u32 v[26:27], s[4:5], s20, v1, 0
	v_mov_b32_e32 v28, v27
	v_mad_u64_u32 v[28:29], s[4:5], s21, v1, v[28:29]
	v_mov_b32_e32 v27, v28
	v_mul_lo_u32 v70, s22, v31
	v_lshl_add_u64 v[26:27], v[26:27], 4, v[34:35]
	v_pk_add_u16 v1, v0, s3 op_sel_hi:[0,1]
	v_lshl_add_u64 v[38:39], v[70:71], 4, v[26:27]
	global_load_dwordx4 v[30:33], v[36:37], off
	global_load_dwordx4 v[26:29], v[38:39], off
	v_and_b32_e32 v36, 0x7ff, v1
	v_mul_u32_u24_e32 v36, 0x717, v36
	s_movk_i32 s3, 0xe2d
	v_lshrrev_b32_e32 v40, 19, v36
	v_mul_u32_u24_sdwa v36, v1, s3 dst_sel:DWORD dst_unused:UNUSED_PAD src0_sel:WORD_1 src1_sel:DWORD
	v_lshrrev_b32_e32 v41, 20, v36
	v_perm_b32 v82, v41, v40, s2
	v_pk_mul_lo_u16 v36, v82, s19 op_sel_hi:[1,0]
	v_mul_lo_u32 v70, s22, v40
	v_pk_sub_i16 v83, v1, v36
	s_mov_b32 s36, 0x2a9d6da3
	v_and_b32_e32 v1, 0xffff, v83
	v_mad_u64_u32 v[36:37], s[4:5], s20, v1, 0
	v_mov_b32_e32 v38, v37
	v_mad_u64_u32 v[38:39], s[4:5], s21, v1, v[38:39]
	v_mov_b32_e32 v37, v38
	v_lshl_add_u64 v[36:37], v[36:37], 4, v[34:35]
	v_lshrrev_b32_e32 v1, 16, v83
	v_lshl_add_u64 v[44:45], v[70:71], 4, v[36:37]
	v_mad_u64_u32 v[36:37], s[4:5], s20, v1, 0
	v_mov_b32_e32 v38, v37
	v_mad_u64_u32 v[38:39], s[4:5], s21, v1, v[38:39]
	v_mov_b32_e32 v37, v38
	s_mov_b32 s4, 0x51d04a6
	v_mul_lo_u32 v70, s22, v41
	v_lshl_add_u64 v[36:37], v[36:37], 4, v[34:35]
	v_pk_add_u16 v1, v0, s4 op_sel_hi:[0,1]
	v_lshl_add_u64 v[46:47], v[70:71], 4, v[36:37]
	global_load_dwordx4 v[36:39], v[44:45], off
	global_load_dwordx4 v[40:43], v[46:47], off
	v_and_b32_e32 v44, 0x5ff, v1
	v_mul_u32_u24_e32 v44, 0xe2d, v44
	v_lshrrev_b32_e32 v48, 20, v44
	v_mul_u32_u24_sdwa v44, v1, s3 dst_sel:DWORD dst_unused:UNUSED_PAD src0_sel:WORD_1 src1_sel:DWORD
	v_lshrrev_b32_e32 v49, 20, v44
	v_perm_b32 v84, v49, v48, s2
	v_pk_mul_lo_u16 v44, v84, s19 op_sel_hi:[1,0]
	v_mul_lo_u32 v70, s22, v48
	v_pk_sub_i16 v85, v1, v44
	s_mov_b32 s38, 0x7c9e640b
	v_and_b32_e32 v1, 0xffff, v85
	v_mad_u64_u32 v[44:45], s[4:5], s20, v1, 0
	v_mov_b32_e32 v46, v45
	v_mad_u64_u32 v[46:47], s[4:5], s21, v1, v[46:47]
	v_mov_b32_e32 v45, v46
	v_lshl_add_u64 v[44:45], v[44:45], 4, v[34:35]
	v_lshrrev_b32_e32 v1, 16, v85
	v_lshl_add_u64 v[52:53], v[70:71], 4, v[44:45]
	v_mad_u64_u32 v[44:45], s[4:5], s20, v1, 0
	v_mov_b32_e32 v46, v45
	v_mad_u64_u32 v[46:47], s[4:5], s21, v1, v[46:47]
	v_mov_b32_e32 v45, v46
	s_mov_b32 s4, 0x60b0594
	v_mul_lo_u32 v70, s22, v49
	v_lshl_add_u64 v[44:45], v[44:45], 4, v[34:35]
	v_pk_add_u16 v1, v0, s4 op_sel_hi:[0,1]
	v_lshl_add_u64 v[54:55], v[70:71], 4, v[44:45]
	global_load_dwordx4 v[44:47], v[52:53], off
	global_load_dwordx4 v[48:51], v[54:55], off
	v_and_b32_e32 v52, 0x7ff, v1
	v_mul_u32_u24_e32 v52, 0xe2d, v52
	;; [unrolled: 29-line block ×3, first 2 shown]
	v_lshrrev_b32_e32 v64, 20, v60
	v_mul_u32_u24_sdwa v60, v1, s3 dst_sel:DWORD dst_unused:UNUSED_PAD src0_sel:WORD_1 src1_sel:DWORD
	v_lshrrev_b32_e32 v65, 20, v60
	v_perm_b32 v88, v65, v64, s2
	v_pk_mul_lo_u16 v60, v88, s19 op_sel_hi:[1,0]
	v_mul_lo_u32 v70, s22, v64
	v_pk_sub_i16 v89, v1, v60
	s_mov_b32 s26, 0x6c9a05f6
	v_and_b32_e32 v1, 0xffff, v89
	v_mad_u64_u32 v[60:61], s[2:3], s20, v1, 0
	v_mov_b32_e32 v62, v61
	v_mad_u64_u32 v[62:63], s[2:3], s21, v1, v[62:63]
	v_mov_b32_e32 v61, v62
	v_lshl_add_u64 v[60:61], v[60:61], 4, v[34:35]
	v_lshrrev_b32_e32 v1, 16, v89
	v_lshl_add_u64 v[68:69], v[70:71], 4, v[60:61]
	v_mad_u64_u32 v[60:61], s[2:3], s20, v1, 0
	v_mov_b32_e32 v62, v61
	v_mad_u64_u32 v[62:63], s[2:3], s21, v1, v[62:63]
	v_mov_b32_e32 v61, v62
	v_mul_lo_u32 v70, s22, v65
	v_lshl_add_u64 v[60:61], v[60:61], 4, v[34:35]
	v_add_u16_e32 v1, 0x770, v0
	v_lshl_add_u64 v[72:73], v[70:71], 4, v[60:61]
	global_load_dwordx4 v[60:63], v[68:69], off
	global_load_dwordx4 v[64:67], v[72:73], off
	v_mul_u32_u24_e32 v68, 0x717, v1
	v_lshrrev_b32_e32 v90, 19, v68
	v_mul_lo_u16_e32 v68, 0x121, v90
	v_sub_u16_e32 v91, v1, v68
	v_mad_u64_u32 v[68:69], s[2:3], s20, v91, 0
	v_mov_b32_e32 v70, v69
	v_mad_u64_u32 v[72:73], s[2:3], s21, v91, v[70:71]
	v_mov_b32_e32 v69, v72
	v_mul_lo_u32 v70, s22, v90
	v_lshl_add_u64 v[34:35], v[68:69], 4, v[34:35]
	v_lshl_add_u64 v[34:35], v[70:71], 4, v[34:35]
	global_load_dwordx4 v[72:75], v[34:35], off
	v_mul_lo_u16_e32 v34, 7, v0
	v_lshl_add_u32 v34, v34, 4, 0
	s_waitcnt vmcnt(16)
	ds_write_b128 v34, v[6:9]
	v_mov_b32_e32 v6, 0x341
	v_mad_legacy_u16 v6, v0, 7, v6
	v_lshl_add_u32 v6, v6, 4, 0
	s_waitcnt vmcnt(15)
	ds_write_b128 v6, v[2:5]
	v_pk_mad_u16 v2, v77, 7, v76 op_sel_hi:[1,0,1]
	v_mov_b32_e32 v1, 7
	v_and_b32_e32 v3, 0xffff, v2
	v_bfe_u32 v2, v2, 16, 16
	v_lshl_add_u32 v3, v3, 4, 0
	v_lshl_add_u32 v2, v2, 4, 0
	s_waitcnt vmcnt(14)
	ds_write_b128 v3, v[14:17]
	s_waitcnt vmcnt(13)
	ds_write_b128 v2, v[10:13]
	v_pk_mad_u16 v2, v79, 7, v78 op_sel_hi:[1,0,1]
	v_mul_lo_u16_sdwa v1, v111, v1 dst_sel:DWORD dst_unused:UNUSED_PAD src0_sel:WORD_1 src1_sel:DWORD
	v_and_b32_e32 v3, 0xffff, v2
	v_bfe_u32 v2, v2, 16, 16
	v_lshl_add_u32 v3, v3, 4, 0
	v_lshl_add_u32 v2, v2, 4, 0
	s_waitcnt vmcnt(12)
	ds_write_b128 v3, v[22:25]
	s_waitcnt vmcnt(11)
	ds_write_b128 v2, v[18:21]
	v_pk_mad_u16 v2, v81, 7, v80 op_sel_hi:[1,0,1]
	v_sub_u16_e32 v1, v0, v1
	v_and_b32_e32 v3, 0xffff, v2
	v_bfe_u32 v2, v2, 16, 16
	v_lshl_add_u32 v3, v3, 4, 0
	v_lshl_add_u32 v2, v2, 4, 0
	s_waitcnt vmcnt(10)
	ds_write_b128 v3, v[30:33]
	s_waitcnt vmcnt(9)
	ds_write_b128 v2, v[26:29]
	v_pk_mad_u16 v2, v83, 7, v82 op_sel_hi:[1,0,1]
	s_movk_i32 s2, 0x70
	v_and_b32_e32 v3, 0xffff, v2
	v_bfe_u32 v2, v2, 16, 16
	v_lshl_add_u32 v3, v3, 4, 0
	v_lshl_add_u32 v2, v2, 4, 0
	s_waitcnt vmcnt(8)
	ds_write_b128 v3, v[36:39]
	s_waitcnt vmcnt(7)
	ds_write_b128 v2, v[40:43]
	v_pk_mad_u16 v2, v85, 7, v84 op_sel_hi:[1,0,1]
	v_lshlrev_b32_e32 v112, 4, v1
	v_and_b32_e32 v3, 0xffff, v2
	v_bfe_u32 v2, v2, 16, 16
	v_lshl_add_u32 v3, v3, 4, 0
	v_lshl_add_u32 v2, v2, 4, 0
	s_waitcnt vmcnt(6)
	ds_write_b128 v3, v[44:47]
	s_waitcnt vmcnt(5)
	ds_write_b128 v2, v[48:51]
	v_pk_mad_u16 v2, v87, 7, v86 op_sel_hi:[1,0,1]
	s_load_dwordx2 s[0:1], s[0:1], 0x0
	v_and_b32_e32 v3, 0xffff, v2
	v_bfe_u32 v2, v2, 16, 16
	v_lshl_add_u32 v3, v3, 4, 0
	v_lshl_add_u32 v2, v2, 4, 0
	s_waitcnt vmcnt(4)
	ds_write_b128 v3, v[52:55]
	s_waitcnt vmcnt(3)
	ds_write_b128 v2, v[56:59]
	v_pk_mad_u16 v2, v89, 7, v88 op_sel_hi:[1,0,1]
	s_mov_b32 s20, 0x923c349f
	v_and_b32_e32 v3, 0xffff, v2
	v_bfe_u32 v2, v2, 16, 16
	v_lshl_add_u32 v3, v3, 4, 0
	v_lshl_add_u32 v2, v2, 4, 0
	s_mov_b32 s30, 0x4363dd80
	s_mov_b32 s44, 0xacd6c6b4
	;; [unrolled: 1-line block ×3, first 2 shown]
	s_waitcnt vmcnt(2)
	ds_write_b128 v3, v[60:63]
	s_waitcnt vmcnt(1)
	ds_write_b128 v2, v[64:67]
	v_mad_legacy_u16 v2, v91, 7, v90
	v_lshl_add_u32 v2, v2, 4, 0
	s_mov_b32 s14, 0x370991
	s_mov_b32 s37, 0xbfe58eea
	;; [unrolled: 1-line block ×11, first 2 shown]
	s_waitcnt vmcnt(0)
	ds_write_b128 v2, v[72:75]
	v_mul_u32_u24_sdwa v2, v111, s2 dst_sel:DWORD dst_unused:UNUSED_PAD src0_sel:WORD_1 src1_sel:DWORD
	v_add3_u32 v70, 0, v2, v112
	s_waitcnt lgkmcnt(0)
	s_barrier
	ds_read_b128 v[38:41], v70
	ds_read_b128 v[72:75], v70 offset:1904
	ds_read_b128 v[58:61], v70 offset:3808
	;; [unrolled: 1-line block ×16, first 2 shown]
	s_waitcnt lgkmcnt(14)
	v_add_f64 v[4:5], v[40:41], v[74:75]
	v_add_f64 v[2:3], v[38:39], v[72:73]
	;; [unrolled: 1-line block ×4, first 2 shown]
	s_waitcnt lgkmcnt(13)
	v_add_f64 v[4:5], v[4:5], v[52:53]
	v_add_f64 v[2:3], v[2:3], v[50:51]
	s_waitcnt lgkmcnt(12)
	v_add_f64 v[4:5], v[4:5], v[44:45]
	v_add_f64 v[2:3], v[2:3], v[42:43]
	;; [unrolled: 3-line block ×12, first 2 shown]
	s_waitcnt lgkmcnt(1)
	v_add_f64 v[4:5], v[4:5], v[64:65]
	s_waitcnt lgkmcnt(0)
	v_add_f64 v[86:87], v[72:73], v[76:77]
	v_add_f64 v[72:73], v[72:73], -v[76:77]
	v_add_f64 v[90:91], v[74:75], -v[78:79]
	s_mov_b32 s2, 0x3259b75e
	s_mov_b32 s40, 0x910ea3b9
	;; [unrolled: 1-line block ×4, first 2 shown]
	v_add_f64 v[2:3], v[2:3], v[62:63]
	v_add_f64 v[4:5], v[4:5], v[78:79]
	v_add_f64 v[66:67], v[74:75], v[78:79]
	v_mul_f64 v[68:69], v[90:91], s[28:29]
	s_mov_b32 s15, 0x3fedd6d0
	v_mul_f64 v[78:79], v[72:73], s[28:29]
	v_mul_f64 v[80:81], v[90:91], s[36:37]
	s_mov_b32 s11, 0x3fe7a5f6
	v_mul_f64 v[100:101], v[72:73], s[36:37]
	;; [unrolled: 3-line block ×3, first 2 shown]
	s_mov_b32 s3, 0x3fb79ee6
	v_mul_f64 v[96:97], v[90:91], s[20:21]
	s_mov_b32 s13, 0xbfd183b1
	v_mul_f64 v[102:103], v[90:91], s[26:27]
	s_mov_b32 s23, 0xbfe348c8
	v_add_f64 v[108:109], v[58:59], v[62:63]
	v_add_f64 v[58:59], v[58:59], -v[62:63]
	v_add_f64 v[62:63], v[52:53], v[56:57]
	v_add_f64 v[52:53], v[52:53], -v[56:57]
	;; [unrolled: 2-line block ×3, first 2 shown]
	v_mul_f64 v[46:47], v[90:91], s[30:31]
	s_mov_b32 s41, 0xbfeb34fa
	v_mul_f64 v[90:91], v[90:91], s[44:45]
	s_mov_b32 s43, 0xbfef7484
	v_mul_f64 v[116:117], v[72:73], s[38:39]
	v_mul_f64 v[120:121], v[72:73], s[34:35]
	;; [unrolled: 1-line block ×6, first 2 shown]
	v_add_f64 v[2:3], v[2:3], v[76:77]
	v_fma_f64 v[74:75], v[86:87], s[14:15], -v[68:69]
	v_fma_f64 v[76:77], s[14:15], v[66:67], v[78:79]
	v_fmac_f64_e32 v[68:69], s[14:15], v[86:87]
	v_fma_f64 v[78:79], v[66:67], s[14:15], -v[78:79]
	v_fma_f64 v[82:83], v[86:87], s[10:11], -v[80:81]
	v_fmac_f64_e32 v[80:81], s[10:11], v[86:87]
	v_fma_f64 v[88:89], v[86:87], s[4:5], -v[84:85]
	v_fmac_f64_e32 v[84:85], s[4:5], v[86:87]
	;; [unrolled: 2-line block ×5, first 2 shown]
	v_add_f64 v[106:107], v[60:61], v[64:65]
	v_add_f64 v[60:61], v[60:61], -v[64:65]
	v_add_f64 v[64:65], v[50:51], v[54:55]
	v_add_f64 v[50:51], v[50:51], -v[54:55]
	;; [unrolled: 2-line block ×3, first 2 shown]
	v_fma_f64 v[48:49], v[86:87], s[40:41], -v[46:47]
	v_fmac_f64_e32 v[46:47], s[40:41], v[86:87]
	v_fma_f64 v[114:115], v[86:87], s[42:43], -v[90:91]
	v_fmac_f64_e32 v[90:91], s[42:43], v[86:87]
	v_fma_f64 v[86:87], s[10:11], v[66:67], v[100:101]
	v_fma_f64 v[100:101], v[66:67], s[10:11], -v[100:101]
	v_fma_f64 v[118:119], s[4:5], v[66:67], v[116:117]
	v_fma_f64 v[116:117], v[66:67], s[4:5], -v[116:117]
	;; [unrolled: 2-line block ×7, first 2 shown]
	v_add_f64 v[72:73], v[38:39], v[74:75]
	v_add_f64 v[74:75], v[40:41], v[76:77]
	;; [unrolled: 1-line block ×18, first 2 shown]
	v_mul_f64 v[66:67], v[60:61], s[36:37]
	v_add_f64 v[68:69], v[38:39], v[68:69]
	v_add_f64 v[80:81], v[38:39], v[80:81]
	v_add_f64 v[88:89], v[38:39], v[88:89]
	v_add_f64 v[84:85], v[38:39], v[84:85]
	v_add_f64 v[94:95], v[38:39], v[94:95]
	v_add_f64 v[92:93], v[38:39], v[92:93]
	v_add_f64 v[98:99], v[38:39], v[98:99]
	v_add_f64 v[96:97], v[38:39], v[96:97]
	v_add_f64 v[104:105], v[38:39], v[104:105]
	v_add_f64 v[102:103], v[38:39], v[102:103]
	v_add_f64 v[48:49], v[38:39], v[48:49]
	v_add_f64 v[46:47], v[38:39], v[46:47]
	v_add_f64 v[114:115], v[38:39], v[114:115]
	v_add_f64 v[38:39], v[38:39], v[90:91]
	v_fma_f64 v[90:91], v[108:109], s[10:11], -v[66:67]
	v_add_f64 v[72:73], v[90:91], v[72:73]
	v_mul_f64 v[90:91], v[58:59], s[36:37]
	v_fmac_f64_e32 v[66:67], s[10:11], v[108:109]
	v_add_f64 v[66:67], v[66:67], v[68:69]
	v_fma_f64 v[68:69], v[106:107], s[10:11], -v[90:91]
	v_add_f64 v[68:69], v[68:69], v[76:77]
	v_mul_f64 v[76:77], v[60:61], s[34:35]
	v_fma_f64 v[136:137], s[10:11], v[106:107], v[90:91]
	v_fma_f64 v[90:91], v[108:109], s[2:3], -v[76:77]
	v_add_f64 v[78:79], v[90:91], v[78:79]
	v_mul_f64 v[90:91], v[58:59], s[34:35]
	v_fmac_f64_e32 v[76:77], s[2:3], v[108:109]
	v_add_f64 v[76:77], v[76:77], v[80:81]
	v_fma_f64 v[80:81], v[106:107], s[2:3], -v[90:91]
	v_add_f64 v[80:81], v[80:81], v[86:87]
	v_mul_f64 v[86:87], v[60:61], s[26:27]
	v_add_f64 v[74:75], v[136:137], v[74:75]
	v_fma_f64 v[136:137], s[2:3], v[106:107], v[90:91]
	v_fma_f64 v[90:91], v[108:109], s[22:23], -v[86:87]
	v_add_f64 v[88:89], v[90:91], v[88:89]
	v_mul_f64 v[90:91], v[58:59], s[26:27]
	v_fmac_f64_e32 v[86:87], s[22:23], v[108:109]
	v_add_f64 v[82:83], v[136:137], v[82:83]
	v_fma_f64 v[136:137], s[22:23], v[106:107], v[90:91]
	v_add_f64 v[84:85], v[86:87], v[84:85]
	v_fma_f64 v[86:87], v[106:107], s[22:23], -v[90:91]
	v_mul_f64 v[90:91], v[60:61], s[44:45]
	v_add_f64 v[86:87], v[86:87], v[116:117]
	v_fma_f64 v[116:117], v[108:109], s[42:43], -v[90:91]
	v_add_f64 v[94:95], v[116:117], v[94:95]
	v_mul_f64 v[116:117], v[58:59], s[44:45]
	v_fmac_f64_e32 v[90:91], s[42:43], v[108:109]
	s_mov_b32 s55, 0x3fe0d888
	s_mov_b32 s54, s30
	v_add_f64 v[100:101], v[136:137], v[100:101]
	v_fma_f64 v[136:137], s[42:43], v[106:107], v[116:117]
	v_add_f64 v[90:91], v[90:91], v[92:93]
	v_fma_f64 v[92:93], v[106:107], s[42:43], -v[116:117]
	v_mul_f64 v[116:117], v[60:61], s[54:55]
	v_add_f64 v[92:93], v[92:93], v[120:121]
	v_fma_f64 v[120:121], v[108:109], s[40:41], -v[116:117]
	v_add_f64 v[98:99], v[120:121], v[98:99]
	v_mul_f64 v[120:121], v[58:59], s[54:55]
	v_fmac_f64_e32 v[116:117], s[40:41], v[108:109]
	s_mov_b32 s53, 0x3feec746
	s_mov_b32 s52, s20
	;; [unrolled: 12-line block ×3, first 2 shown]
	v_add_f64 v[122:123], v[136:137], v[122:123]
	v_fma_f64 v[136:137], s[12:13], v[106:107], v[124:125]
	v_add_f64 v[102:103], v[120:121], v[102:103]
	v_fma_f64 v[120:121], v[106:107], s[12:13], -v[124:125]
	v_mul_f64 v[124:125], v[60:61], s[46:47]
	v_add_f64 v[120:121], v[120:121], v[128:129]
	v_fma_f64 v[128:129], v[108:109], s[4:5], -v[124:125]
	s_mov_b32 s49, 0x3fd71e95
	s_mov_b32 s48, s28
	v_add_f64 v[48:49], v[128:129], v[48:49]
	v_mul_f64 v[128:129], v[58:59], s[46:47]
	v_fmac_f64_e32 v[124:125], s[4:5], v[108:109]
	v_mul_f64 v[60:61], v[60:61], s[48:49]
	v_add_f64 v[126:127], v[136:137], v[126:127]
	v_fma_f64 v[136:137], s[4:5], v[106:107], v[128:129]
	v_add_f64 v[46:47], v[124:125], v[46:47]
	v_fma_f64 v[124:125], v[106:107], s[4:5], -v[128:129]
	v_fma_f64 v[128:129], v[108:109], s[14:15], -v[60:61]
	v_mul_f64 v[58:59], v[58:59], s[48:49]
	v_add_f64 v[114:115], v[128:129], v[114:115]
	v_fma_f64 v[128:129], s[14:15], v[106:107], v[58:59]
	v_fma_f64 v[58:59], v[106:107], s[14:15], -v[58:59]
	v_fmac_f64_e32 v[60:61], s[14:15], v[108:109]
	v_add_f64 v[40:41], v[58:59], v[40:41]
	v_mul_f64 v[58:59], v[52:53], s[38:39]
	v_add_f64 v[38:39], v[60:61], v[38:39]
	v_fma_f64 v[60:61], v[64:65], s[4:5], -v[58:59]
	v_add_f64 v[60:61], v[60:61], v[72:73]
	v_mul_f64 v[72:73], v[50:51], s[38:39]
	v_fmac_f64_e32 v[58:59], s[4:5], v[64:65]
	v_add_f64 v[58:59], v[58:59], v[66:67]
	v_fma_f64 v[66:67], v[62:63], s[4:5], -v[72:73]
	v_add_f64 v[66:67], v[66:67], v[68:69]
	v_mul_f64 v[68:69], v[52:53], s[26:27]
	v_fma_f64 v[106:107], s[4:5], v[62:63], v[72:73]
	v_fma_f64 v[72:73], v[64:65], s[22:23], -v[68:69]
	v_add_f64 v[72:73], v[72:73], v[78:79]
	v_mul_f64 v[78:79], v[50:51], s[26:27]
	v_fmac_f64_e32 v[68:69], s[22:23], v[64:65]
	s_mov_b32 s61, 0x3fc7851a
	s_mov_b32 s60, s44
	v_add_f64 v[74:75], v[106:107], v[74:75]
	v_fma_f64 v[106:107], s[22:23], v[62:63], v[78:79]
	v_add_f64 v[68:69], v[68:69], v[76:77]
	v_fma_f64 v[76:77], v[62:63], s[22:23], -v[78:79]
	v_mul_f64 v[78:79], v[52:53], s[60:61]
	v_add_f64 v[76:77], v[76:77], v[80:81]
	v_fma_f64 v[80:81], v[64:65], s[42:43], -v[78:79]
	v_add_f64 v[80:81], v[80:81], v[88:89]
	v_mul_f64 v[88:89], v[50:51], s[60:61]
	v_fmac_f64_e32 v[78:79], s[42:43], v[64:65]
	v_add_f64 v[78:79], v[78:79], v[84:85]
	v_fma_f64 v[84:85], v[62:63], s[42:43], -v[88:89]
	v_add_f64 v[84:85], v[84:85], v[86:87]
	v_mul_f64 v[86:87], v[52:53], s[52:53]
	v_add_f64 v[82:83], v[106:107], v[82:83]
	v_fma_f64 v[106:107], s[42:43], v[62:63], v[88:89]
	v_fma_f64 v[88:89], v[64:65], s[12:13], -v[86:87]
	v_add_f64 v[88:89], v[88:89], v[94:95]
	v_mul_f64 v[94:95], v[50:51], s[52:53]
	v_fmac_f64_e32 v[86:87], s[12:13], v[64:65]
	v_add_f64 v[86:87], v[86:87], v[90:91]
	v_fma_f64 v[90:91], v[62:63], s[12:13], -v[94:95]
	s_mov_b32 s51, 0x3fe58eea
	s_mov_b32 s50, s36
	v_add_f64 v[90:91], v[90:91], v[92:93]
	v_mul_f64 v[92:93], v[52:53], s[50:51]
	v_add_f64 v[100:101], v[106:107], v[100:101]
	v_fma_f64 v[106:107], s[12:13], v[62:63], v[94:95]
	v_fma_f64 v[94:95], v[64:65], s[10:11], -v[92:93]
	v_add_f64 v[94:95], v[94:95], v[98:99]
	v_mul_f64 v[98:99], v[50:51], s[50:51]
	v_fmac_f64_e32 v[92:93], s[10:11], v[64:65]
	v_fma_f64 v[108:109], s[10:11], v[62:63], v[98:99]
	v_add_f64 v[92:93], v[92:93], v[96:97]
	v_fma_f64 v[96:97], v[62:63], s[10:11], -v[98:99]
	v_mul_f64 v[98:99], v[52:53], s[28:29]
	v_add_f64 v[96:97], v[96:97], v[116:117]
	v_fma_f64 v[116:117], v[64:65], s[14:15], -v[98:99]
	v_add_f64 v[104:105], v[116:117], v[104:105]
	v_mul_f64 v[116:117], v[50:51], s[28:29]
	v_fmac_f64_e32 v[98:99], s[14:15], v[64:65]
	v_add_f64 v[106:107], v[106:107], v[118:119]
	v_fma_f64 v[118:119], s[14:15], v[62:63], v[116:117]
	v_add_f64 v[98:99], v[98:99], v[102:103]
	v_fma_f64 v[102:103], v[62:63], s[14:15], -v[116:117]
	v_mul_f64 v[116:117], v[52:53], s[34:35]
	v_add_f64 v[102:103], v[102:103], v[120:121]
	v_fma_f64 v[120:121], v[64:65], s[2:3], -v[116:117]
	v_add_f64 v[48:49], v[120:121], v[48:49]
	v_mul_f64 v[120:121], v[50:51], s[34:35]
	v_fmac_f64_e32 v[116:117], s[2:3], v[64:65]
	v_mul_f64 v[52:53], v[52:53], s[30:31]
	v_add_f64 v[108:109], v[108:109], v[122:123]
	v_fma_f64 v[122:123], s[2:3], v[62:63], v[120:121]
	v_add_f64 v[46:47], v[116:117], v[46:47]
	v_fma_f64 v[116:117], v[62:63], s[2:3], -v[120:121]
	v_fma_f64 v[120:121], v[64:65], s[40:41], -v[52:53]
	v_mul_f64 v[50:51], v[50:51], s[30:31]
	v_add_f64 v[114:115], v[120:121], v[114:115]
	v_fma_f64 v[120:121], s[40:41], v[62:63], v[50:51]
	v_fma_f64 v[50:51], v[62:63], s[40:41], -v[50:51]
	v_fmac_f64_e32 v[52:53], s[40:41], v[64:65]
	v_add_f64 v[40:41], v[50:51], v[40:41]
	v_mul_f64 v[50:51], v[44:45], s[34:35]
	v_add_f64 v[38:39], v[52:53], v[38:39]
	v_fma_f64 v[52:53], v[56:57], s[2:3], -v[50:51]
	v_add_f64 v[52:53], v[52:53], v[60:61]
	v_mul_f64 v[60:61], v[42:43], s[34:35]
	v_fmac_f64_e32 v[50:51], s[2:3], v[56:57]
	v_fma_f64 v[62:63], s[2:3], v[54:55], v[60:61]
	v_add_f64 v[50:51], v[50:51], v[58:59]
	v_fma_f64 v[58:59], v[54:55], s[2:3], -v[60:61]
	v_mul_f64 v[60:61], v[44:45], s[44:45]
	v_add_f64 v[58:59], v[58:59], v[66:67]
	v_fma_f64 v[64:65], v[56:57], s[42:43], -v[60:61]
	v_mul_f64 v[66:67], v[42:43], s[44:45]
	v_fmac_f64_e32 v[60:61], s[42:43], v[56:57]
	v_add_f64 v[64:65], v[64:65], v[72:73]
	v_fma_f64 v[72:73], s[42:43], v[54:55], v[66:67]
	v_add_f64 v[60:61], v[60:61], v[68:69]
	v_fma_f64 v[66:67], v[54:55], s[42:43], -v[66:67]
	v_mul_f64 v[68:69], v[44:45], s[52:53]
	v_add_f64 v[62:63], v[62:63], v[74:75]
	v_add_f64 v[66:67], v[66:67], v[76:77]
	v_fma_f64 v[74:75], v[56:57], s[12:13], -v[68:69]
	v_mul_f64 v[76:77], v[42:43], s[52:53]
	v_fmac_f64_e32 v[68:69], s[12:13], v[56:57]
	v_add_f64 v[74:75], v[74:75], v[80:81]
	v_fma_f64 v[80:81], s[12:13], v[54:55], v[76:77]
	v_add_f64 v[68:69], v[68:69], v[78:79]
	v_fma_f64 v[76:77], v[54:55], s[12:13], -v[76:77]
	v_mul_f64 v[78:79], v[44:45], s[48:49]
	v_add_f64 v[72:73], v[72:73], v[82:83]
	;; [unrolled: 10-line block ×3, first 2 shown]
	v_fma_f64 v[90:91], v[56:57], s[4:5], -v[86:87]
	v_add_f64 v[90:91], v[90:91], v[94:95]
	v_mul_f64 v[94:95], v[42:43], s[38:39]
	v_fmac_f64_e32 v[86:87], s[4:5], v[56:57]
	v_add_f64 v[80:81], v[80:81], v[100:101]
	v_fma_f64 v[100:101], s[4:5], v[54:55], v[94:95]
	v_add_f64 v[86:87], v[86:87], v[92:93]
	v_fma_f64 v[92:93], v[54:55], s[4:5], -v[94:95]
	v_mul_f64 v[94:95], v[44:45], s[30:31]
	v_add_f64 v[92:93], v[92:93], v[96:97]
	v_fma_f64 v[96:97], v[56:57], s[40:41], -v[94:95]
	v_add_f64 v[96:97], v[96:97], v[104:105]
	v_mul_f64 v[104:105], v[42:43], s[30:31]
	v_fmac_f64_e32 v[94:95], s[40:41], v[56:57]
	v_add_f64 v[94:95], v[94:95], v[98:99]
	v_fma_f64 v[98:99], v[54:55], s[40:41], -v[104:105]
	s_mov_b32 s57, 0x3fe9895b
	s_mov_b32 s56, s26
	v_add_f64 v[98:99], v[98:99], v[102:103]
	v_mul_f64 v[102:103], v[44:45], s[56:57]
	v_add_f64 v[88:89], v[88:89], v[106:107]
	v_fma_f64 v[106:107], s[40:41], v[54:55], v[104:105]
	v_fma_f64 v[104:105], v[56:57], s[22:23], -v[102:103]
	v_add_f64 v[48:49], v[104:105], v[48:49]
	v_mul_f64 v[104:105], v[42:43], s[56:57]
	v_fmac_f64_e32 v[102:103], s[22:23], v[56:57]
	v_mul_f64 v[44:45], v[44:45], s[50:51]
	v_add_f64 v[100:101], v[100:101], v[108:109]
	v_fma_f64 v[108:109], s[22:23], v[54:55], v[104:105]
	v_add_f64 v[46:47], v[102:103], v[46:47]
	v_fma_f64 v[102:103], v[54:55], s[22:23], -v[104:105]
	v_fma_f64 v[104:105], v[56:57], s[10:11], -v[44:45]
	v_mul_f64 v[42:43], v[42:43], s[50:51]
	v_fmac_f64_e32 v[44:45], s[10:11], v[56:57]
	v_add_f64 v[104:105], v[104:105], v[114:115]
	v_fma_f64 v[114:115], s[10:11], v[54:55], v[42:43]
	v_add_f64 v[38:39], v[44:45], v[38:39]
	v_fma_f64 v[42:43], v[54:55], s[10:11], -v[42:43]
	v_add_f64 v[44:45], v[32:33], v[36:37]
	v_add_f64 v[32:33], v[32:33], -v[36:37]
	v_add_f64 v[40:41], v[42:43], v[40:41]
	v_add_f64 v[42:43], v[30:31], v[34:35]
	v_add_f64 v[30:31], v[30:31], -v[34:35]
	v_mul_f64 v[34:35], v[32:33], s[20:21]
	v_fma_f64 v[36:37], v[42:43], s[12:13], -v[34:35]
	v_add_f64 v[36:37], v[36:37], v[52:53]
	v_mul_f64 v[52:53], v[30:31], s[20:21]
	v_fmac_f64_e32 v[34:35], s[12:13], v[42:43]
	v_fma_f64 v[54:55], s[12:13], v[44:45], v[52:53]
	v_add_f64 v[34:35], v[34:35], v[50:51]
	v_fma_f64 v[50:51], v[44:45], s[12:13], -v[52:53]
	v_mul_f64 v[52:53], v[32:33], s[54:55]
	v_add_f64 v[50:51], v[50:51], v[58:59]
	v_fma_f64 v[56:57], v[42:43], s[40:41], -v[52:53]
	v_mul_f64 v[58:59], v[30:31], s[54:55]
	v_fmac_f64_e32 v[52:53], s[40:41], v[42:43]
	v_add_f64 v[54:55], v[54:55], v[62:63]
	v_fma_f64 v[62:63], s[40:41], v[44:45], v[58:59]
	v_add_f64 v[52:53], v[52:53], v[60:61]
	v_fma_f64 v[58:59], v[44:45], s[40:41], -v[58:59]
	v_mul_f64 v[60:61], v[32:33], s[50:51]
	v_add_f64 v[56:57], v[56:57], v[64:65]
	v_add_f64 v[58:59], v[58:59], v[66:67]
	v_fma_f64 v[64:65], v[42:43], s[10:11], -v[60:61]
	v_mul_f64 v[66:67], v[30:31], s[50:51]
	v_fmac_f64_e32 v[60:61], s[10:11], v[42:43]
	v_add_f64 v[62:63], v[62:63], v[72:73]
	v_fma_f64 v[72:73], s[10:11], v[44:45], v[66:67]
	v_add_f64 v[60:61], v[60:61], v[68:69]
	v_fma_f64 v[66:67], v[44:45], s[10:11], -v[66:67]
	v_mul_f64 v[68:69], v[32:33], s[38:39]
	v_add_f64 v[64:65], v[64:65], v[74:75]
	;; [unrolled: 10-line block ×3, first 2 shown]
	v_add_f64 v[76:77], v[76:77], v[84:85]
	v_fma_f64 v[82:83], v[42:43], s[42:43], -v[78:79]
	v_mul_f64 v[84:85], v[30:31], s[44:45]
	v_fmac_f64_e32 v[78:79], s[42:43], v[42:43]
	s_mov_b32 s59, 0x3fefdd0d
	s_mov_b32 s58, s34
	v_add_f64 v[80:81], v[80:81], v[88:89]
	v_fma_f64 v[88:89], s[42:43], v[44:45], v[84:85]
	v_add_f64 v[78:79], v[78:79], v[86:87]
	v_fma_f64 v[84:85], v[44:45], s[42:43], -v[84:85]
	v_mul_f64 v[86:87], v[32:33], s[58:59]
	v_add_f64 v[82:83], v[82:83], v[90:91]
	v_add_f64 v[84:85], v[84:85], v[92:93]
	v_fma_f64 v[90:91], v[42:43], s[2:3], -v[86:87]
	v_mul_f64 v[92:93], v[30:31], s[58:59]
	v_fmac_f64_e32 v[86:87], s[2:3], v[42:43]
	v_add_f64 v[90:91], v[90:91], v[96:97]
	v_fma_f64 v[96:97], s[2:3], v[44:45], v[92:93]
	v_add_f64 v[86:87], v[86:87], v[94:95]
	v_fma_f64 v[92:93], v[44:45], s[2:3], -v[92:93]
	v_mul_f64 v[94:95], v[32:33], s[28:29]
	v_add_f64 v[124:125], v[124:125], v[132:133]
	v_add_f64 v[92:93], v[92:93], v[98:99]
	v_fma_f64 v[98:99], v[42:43], s[14:15], -v[94:95]
	v_add_f64 v[116:117], v[116:117], v[124:125]
	v_add_f64 v[48:49], v[98:99], v[48:49]
	v_mul_f64 v[98:99], v[30:31], s[28:29]
	v_fmac_f64_e32 v[94:95], s[14:15], v[42:43]
	v_add_f64 v[102:103], v[102:103], v[116:117]
	v_add_f64 v[46:47], v[94:95], v[46:47]
	v_fma_f64 v[94:95], v[44:45], s[14:15], -v[98:99]
	v_mul_f64 v[30:31], v[30:31], s[26:27]
	v_add_f64 v[94:95], v[94:95], v[102:103]
	v_mul_f64 v[32:33], v[32:33], s[26:27]
	v_fma_f64 v[102:103], s[22:23], v[44:45], v[30:31]
	v_fma_f64 v[30:31], v[44:45], s[22:23], -v[30:31]
	v_add_f64 v[88:89], v[88:89], v[100:101]
	v_fma_f64 v[100:101], s[14:15], v[44:45], v[98:99]
	v_fma_f64 v[98:99], v[42:43], s[22:23], -v[32:33]
	v_fmac_f64_e32 v[32:33], s[22:23], v[42:43]
	v_add_f64 v[30:31], v[30:31], v[40:41]
	v_add_f64 v[40:41], v[24:25], v[28:29]
	v_add_f64 v[24:25], v[24:25], -v[28:29]
	v_add_f64 v[32:33], v[32:33], v[38:39]
	v_add_f64 v[38:39], v[22:23], v[26:27]
	v_add_f64 v[22:23], v[22:23], -v[26:27]
	v_mul_f64 v[26:27], v[24:25], s[26:27]
	v_fma_f64 v[28:29], v[38:39], s[22:23], -v[26:27]
	v_add_f64 v[28:29], v[28:29], v[36:37]
	v_mul_f64 v[36:37], v[22:23], s[26:27]
	v_fmac_f64_e32 v[26:27], s[22:23], v[38:39]
	v_fma_f64 v[42:43], s[22:23], v[40:41], v[36:37]
	v_add_f64 v[26:27], v[26:27], v[34:35]
	v_fma_f64 v[34:35], v[40:41], s[22:23], -v[36:37]
	v_mul_f64 v[36:37], v[24:25], s[52:53]
	v_add_f64 v[34:35], v[34:35], v[50:51]
	v_fma_f64 v[44:45], v[38:39], s[12:13], -v[36:37]
	v_mul_f64 v[50:51], v[22:23], s[52:53]
	v_fmac_f64_e32 v[36:37], s[12:13], v[38:39]
	v_add_f64 v[42:43], v[42:43], v[54:55]
	v_fma_f64 v[54:55], s[12:13], v[40:41], v[50:51]
	v_add_f64 v[36:37], v[36:37], v[52:53]
	v_fma_f64 v[50:51], v[40:41], s[12:13], -v[50:51]
	v_mul_f64 v[52:53], v[24:25], s[28:29]
	v_add_f64 v[44:45], v[44:45], v[56:57]
	v_add_f64 v[50:51], v[50:51], v[58:59]
	v_fma_f64 v[56:57], v[38:39], s[14:15], -v[52:53]
	v_mul_f64 v[58:59], v[22:23], s[28:29]
	v_fmac_f64_e32 v[52:53], s[14:15], v[38:39]
	v_add_f64 v[54:55], v[54:55], v[62:63]
	v_fma_f64 v[62:63], s[14:15], v[40:41], v[58:59]
	v_add_f64 v[52:53], v[52:53], v[60:61]
	v_fma_f64 v[58:59], v[40:41], s[14:15], -v[58:59]
	v_mul_f64 v[60:61], v[24:25], s[30:31]
	v_add_f64 v[56:57], v[56:57], v[64:65]
	;; [unrolled: 10-line block ×3, first 2 shown]
	v_add_f64 v[66:67], v[66:67], v[76:77]
	v_fma_f64 v[74:75], v[38:39], s[2:3], -v[68:69]
	v_mul_f64 v[76:77], v[22:23], s[58:59]
	v_fmac_f64_e32 v[68:69], s[2:3], v[38:39]
	v_add_f64 v[72:73], v[72:73], v[80:81]
	v_fma_f64 v[80:81], s[2:3], v[40:41], v[76:77]
	v_add_f64 v[68:69], v[68:69], v[78:79]
	v_mul_f64 v[78:79], v[24:25], s[36:37]
	v_add_f64 v[88:89], v[80:81], v[88:89]
	v_fma_f64 v[80:81], v[38:39], s[10:11], -v[78:79]
	v_add_f64 v[128:129], v[128:129], v[134:135]
	v_add_f64 v[90:91], v[80:81], v[90:91]
	v_mul_f64 v[80:81], v[22:23], s[36:37]
	v_fmac_f64_e32 v[78:79], s[10:11], v[38:39]
	v_add_f64 v[120:121], v[120:121], v[128:129]
	v_add_f64 v[98:99], v[98:99], v[104:105]
	;; [unrolled: 1-line block ×3, first 2 shown]
	v_fma_f64 v[78:79], v[40:41], s[10:11], -v[80:81]
	v_add_f64 v[130:131], v[136:137], v[130:131]
	v_add_f64 v[118:119], v[118:119], v[126:127]
	;; [unrolled: 1-line block ×4, first 2 shown]
	v_mul_f64 v[78:79], v[24:25], s[44:45]
	v_add_f64 v[120:121], v[16:17], -v[20:21]
	v_add_f64 v[122:123], v[122:123], v[130:131]
	v_add_f64 v[106:107], v[106:107], v[118:119]
	;; [unrolled: 1-line block ×4, first 2 shown]
	v_fma_f64 v[82:83], s[10:11], v[40:41], v[80:81]
	v_fma_f64 v[80:81], v[38:39], s[42:43], -v[78:79]
	v_add_f64 v[114:115], v[14:15], v[18:19]
	v_add_f64 v[118:119], v[14:15], -v[18:19]
	v_mul_f64 v[14:15], v[120:121], s[30:31]
	v_add_f64 v[108:109], v[108:109], v[122:123]
	v_add_f64 v[96:97], v[96:97], v[106:107]
	;; [unrolled: 1-line block ×3, first 2 shown]
	v_mul_f64 v[80:81], v[22:23], s[44:45]
	v_add_f64 v[116:117], v[16:17], v[20:21]
	v_fma_f64 v[16:17], v[114:115], s[40:41], -v[14:15]
	v_add_f64 v[100:101], v[100:101], v[108:109]
	v_add_f64 v[96:97], v[82:83], v[96:97]
	v_fma_f64 v[82:83], s[42:43], v[40:41], v[80:81]
	v_add_f64 v[86:87], v[16:17], v[28:29]
	v_mul_f64 v[16:17], v[118:119], s[30:31]
	v_fmac_f64_e32 v[14:15], s[40:41], v[114:115]
	v_add_f64 v[100:101], v[82:83], v[100:101]
	v_fmac_f64_e32 v[78:79], s[42:43], v[38:39]
	v_add_f64 v[82:83], v[14:15], v[26:27]
	v_fma_f64 v[14:15], v[116:117], s[40:41], -v[16:17]
	v_add_f64 v[46:47], v[78:79], v[46:47]
	v_fma_f64 v[78:79], v[40:41], s[42:43], -v[80:81]
	v_mul_f64 v[24:25], v[24:25], s[46:47]
	v_add_f64 v[80:81], v[14:15], v[34:35]
	v_mul_f64 v[14:15], v[120:121], s[46:47]
	v_fma_f64 v[76:77], v[40:41], s[2:3], -v[76:77]
	v_add_f64 v[94:95], v[78:79], v[94:95]
	v_fma_f64 v[78:79], v[38:39], s[4:5], -v[24:25]
	v_mul_f64 v[22:23], v[22:23], s[46:47]
	v_fma_f64 v[18:19], s[40:41], v[116:117], v[16:17]
	v_fma_f64 v[16:17], v[114:115], s[4:5], -v[14:15]
	v_add_f64 v[76:77], v[76:77], v[84:85]
	v_add_f64 v[98:99], v[78:79], v[98:99]
	v_fma_f64 v[78:79], s[4:5], v[40:41], v[22:23]
	v_fma_f64 v[22:23], v[40:41], s[4:5], -v[22:23]
	v_add_f64 v[84:85], v[18:19], v[42:43]
	v_add_f64 v[18:19], v[16:17], v[44:45]
	v_mul_f64 v[16:17], v[118:119], s[46:47]
	v_fmac_f64_e32 v[24:25], s[4:5], v[38:39]
	v_add_f64 v[108:109], v[22:23], v[30:31]
	v_fma_f64 v[20:21], s[4:5], v[116:117], v[16:17]
	v_fma_f64 v[16:17], v[116:117], s[4:5], -v[16:17]
	v_mul_f64 v[22:23], v[120:121], s[34:35]
	v_add_f64 v[106:107], v[24:25], v[32:33]
	v_add_f64 v[16:17], v[16:17], v[50:51]
	v_fma_f64 v[24:25], v[114:115], s[2:3], -v[22:23]
	v_fmac_f64_e32 v[22:23], s[2:3], v[114:115]
	v_mul_f64 v[30:31], v[120:121], s[56:57]
	v_mul_f64 v[50:51], v[120:121], s[44:45]
	v_add_f64 v[22:23], v[22:23], v[52:53]
	v_fma_f64 v[32:33], v[114:115], s[22:23], -v[30:31]
	v_mul_f64 v[38:39], v[120:121], s[28:29]
	v_fma_f64 v[52:53], v[114:115], s[42:43], -v[50:51]
	v_add_f64 v[102:103], v[78:79], v[102:103]
	v_fmac_f64_e32 v[14:15], s[4:5], v[114:115]
	v_add_f64 v[34:35], v[32:33], v[64:65]
	v_mul_f64 v[32:33], v[118:119], s[56:57]
	v_fma_f64 v[40:41], v[114:115], s[14:15], -v[38:39]
	v_add_f64 v[78:79], v[52:53], v[90:91]
	v_mul_f64 v[52:53], v[118:119], s[44:45]
	v_fmac_f64_e32 v[50:51], s[42:43], v[114:115]
	v_add_f64 v[14:15], v[14:15], v[36:37]
	v_fma_f64 v[36:37], s[22:23], v[116:117], v[32:33]
	v_add_f64 v[42:43], v[40:41], v[74:75]
	v_add_f64 v[74:75], v[50:51], v[104:105]
	v_fma_f64 v[50:51], v[116:117], s[42:43], -v[52:53]
	v_add_f64 v[36:37], v[36:37], v[72:73]
	v_add_f64 v[72:73], v[50:51], v[92:93]
	v_mul_f64 v[50:51], v[120:121], s[50:51]
	v_add_f64 v[20:21], v[20:21], v[54:55]
	v_fma_f64 v[54:55], s[42:43], v[116:117], v[52:53]
	v_fma_f64 v[52:53], v[114:115], s[10:11], -v[50:51]
	v_mul_f64 v[40:41], v[118:119], s[28:29]
	v_add_f64 v[64:65], v[52:53], v[48:49]
	v_mul_f64 v[48:49], v[118:119], s[50:51]
	v_fmac_f64_e32 v[50:51], s[10:11], v[114:115]
	v_add_f64 v[26:27], v[24:25], v[56:57]
	v_mul_f64 v[24:25], v[118:119], s[34:35]
	v_fma_f64 v[44:45], s[14:15], v[116:117], v[40:41]
	v_fma_f64 v[40:41], v[116:117], s[14:15], -v[40:41]
	v_add_f64 v[56:57], v[50:51], v[46:47]
	v_fma_f64 v[46:47], v[116:117], s[10:11], -v[48:49]
	v_fma_f64 v[28:29], s[2:3], v[116:117], v[24:25]
	v_fma_f64 v[24:25], v[116:117], s[2:3], -v[24:25]
	v_fmac_f64_e32 v[38:39], s[14:15], v[114:115]
	v_add_f64 v[40:41], v[40:41], v[76:77]
	v_add_f64 v[76:77], v[54:55], v[96:97]
	;; [unrolled: 1-line block ×3, first 2 shown]
	v_mul_f64 v[46:47], v[120:121], s[20:21]
	v_add_f64 v[24:25], v[24:25], v[58:59]
	v_fmac_f64_e32 v[30:31], s[22:23], v[114:115]
	v_fma_f64 v[32:33], v[116:117], s[22:23], -v[32:33]
	v_add_f64 v[38:39], v[38:39], v[68:69]
	v_fma_f64 v[52:53], s[10:11], v[116:117], v[48:49]
	v_fma_f64 v[48:49], v[114:115], s[12:13], -v[46:47]
	v_mul_f64 v[58:59], v[118:119], s[20:21]
	v_add_f64 v[68:69], v[8:9], -v[12:13]
	v_add_f64 v[28:29], v[28:29], v[62:63]
	v_add_f64 v[30:31], v[30:31], v[60:61]
	;; [unrolled: 1-line block ×5, first 2 shown]
	v_fma_f64 v[48:49], s[12:13], v[116:117], v[58:59]
	v_fmac_f64_e32 v[46:47], s[12:13], v[114:115]
	v_add_f64 v[60:61], v[6:7], v[10:11]
	v_add_f64 v[66:67], v[6:7], -v[10:11]
	v_mul_f64 v[6:7], v[68:69], s[44:45]
	v_add_f64 v[50:51], v[48:49], v[102:103]
	v_add_f64 v[48:49], v[46:47], v[106:107]
	v_fma_f64 v[46:47], v[116:117], s[12:13], -v[58:59]
	v_add_f64 v[58:59], v[8:9], v[12:13]
	v_fma_f64 v[8:9], v[60:61], s[42:43], -v[6:7]
	v_add_f64 v[10:11], v[8:9], v[86:87]
	v_mul_f64 v[8:9], v[66:67], s[44:45]
	v_fma_f64 v[12:13], s[42:43], v[58:59], v[8:9]
	v_fma_f64 v[8:9], v[58:59], s[42:43], -v[8:9]
	v_fmac_f64_e32 v[6:7], s[42:43], v[60:61]
	v_add_f64 v[8:9], v[8:9], v[80:81]
	v_mul_f64 v[80:81], v[68:69], s[48:49]
	v_add_f64 v[6:7], v[6:7], v[82:83]
	v_fma_f64 v[82:83], v[60:61], s[14:15], -v[80:81]
	v_add_f64 v[18:19], v[82:83], v[18:19]
	v_mul_f64 v[82:83], v[66:67], s[48:49]
	v_fmac_f64_e32 v[80:81], s[14:15], v[60:61]
	v_add_f64 v[14:15], v[80:81], v[14:15]
	v_fma_f64 v[80:81], v[58:59], s[14:15], -v[82:83]
	v_add_f64 v[16:17], v[80:81], v[16:17]
	v_mul_f64 v[80:81], v[68:69], s[30:31]
	v_add_f64 v[12:13], v[12:13], v[84:85]
	v_fma_f64 v[84:85], s[14:15], v[58:59], v[82:83]
	v_fma_f64 v[82:83], v[60:61], s[40:41], -v[80:81]
	v_add_f64 v[26:27], v[82:83], v[26:27]
	v_mul_f64 v[82:83], v[66:67], s[30:31]
	v_fmac_f64_e32 v[80:81], s[40:41], v[60:61]
	v_add_f64 v[22:23], v[80:81], v[22:23]
	v_fma_f64 v[80:81], v[58:59], s[40:41], -v[82:83]
	v_add_f64 v[24:25], v[80:81], v[24:25]
	v_mul_f64 v[80:81], v[68:69], s[50:51]
	v_add_f64 v[20:21], v[84:85], v[20:21]
	v_fma_f64 v[84:85], s[40:41], v[58:59], v[82:83]
	;; [unrolled: 10-line block ×3, first 2 shown]
	v_fma_f64 v[82:83], v[60:61], s[22:23], -v[80:81]
	v_add_f64 v[42:43], v[82:83], v[42:43]
	v_mul_f64 v[82:83], v[66:67], s[26:27]
	v_fmac_f64_e32 v[80:81], s[22:23], v[60:61]
	v_add_f64 v[44:45], v[44:45], v[88:89]
	v_add_f64 v[36:37], v[84:85], v[36:37]
	v_fma_f64 v[84:85], s[22:23], v[58:59], v[82:83]
	v_add_f64 v[38:39], v[80:81], v[38:39]
	v_fma_f64 v[80:81], v[58:59], s[22:23], -v[82:83]
	v_mul_f64 v[82:83], v[68:69], s[46:47]
	v_add_f64 v[44:45], v[84:85], v[44:45]
	v_add_f64 v[40:41], v[80:81], v[40:41]
	v_fma_f64 v[80:81], v[60:61], s[4:5], -v[82:83]
	v_mul_f64 v[84:85], v[66:67], s[46:47]
	v_add_f64 v[78:79], v[80:81], v[78:79]
	v_fma_f64 v[80:81], s[4:5], v[58:59], v[84:85]
	v_add_f64 v[80:81], v[80:81], v[76:77]
	v_fma_f64 v[76:77], v[58:59], s[4:5], -v[84:85]
	v_fmac_f64_e32 v[82:83], s[4:5], v[60:61]
	v_add_f64 v[76:77], v[76:77], v[72:73]
	v_mul_f64 v[72:73], v[68:69], s[20:21]
	v_add_f64 v[74:75], v[82:83], v[74:75]
	v_fma_f64 v[82:83], v[60:61], s[12:13], -v[72:73]
	v_add_f64 v[82:83], v[82:83], v[64:65]
	v_mul_f64 v[64:65], v[66:67], s[20:21]
	v_fma_f64 v[84:85], s[12:13], v[58:59], v[64:65]
	v_fmac_f64_e32 v[72:73], s[12:13], v[60:61]
	v_add_f64 v[84:85], v[84:85], v[62:63]
	v_add_f64 v[62:63], v[72:73], v[56:57]
	v_fma_f64 v[56:57], v[58:59], s[12:13], -v[64:65]
	v_add_f64 v[64:65], v[56:57], v[54:55]
	v_mul_f64 v[56:57], v[68:69], s[58:59]
	v_fma_f64 v[54:55], v[60:61], s[2:3], -v[56:57]
	v_mul_f64 v[66:67], v[66:67], s[58:59]
	v_add_f64 v[52:53], v[54:55], v[52:53]
	v_fma_f64 v[54:55], s[2:3], v[58:59], v[66:67]
	s_movk_i32 s33, 0x770
	v_add_f64 v[46:47], v[46:47], v[108:109]
	v_add_f64 v[54:55], v[54:55], v[50:51]
	v_fma_f64 v[50:51], v[58:59], s[2:3], -v[66:67]
	v_add_f64 v[50:51], v[50:51], v[46:47]
	v_mul_u32_u24_sdwa v46, v111, s33 dst_sel:DWORD dst_unused:UNUSED_PAD src0_sel:WORD_1 src1_sel:DWORD
	v_fmac_f64_e32 v[56:57], s[2:3], v[60:61]
	v_add3_u32 v46, 0, v46, v112
	v_add_f64 v[48:49], v[56:57], v[48:49]
	s_barrier
	ds_write_b128 v46, v[2:5]
	ds_write_b128 v46, v[10:13] offset:112
	ds_write_b128 v46, v[18:21] offset:224
	;; [unrolled: 1-line block ×16, first 2 shown]
	v_mov_b32_e32 v2, 31
	v_mul_lo_u16_sdwa v2, v111, v2 dst_sel:DWORD dst_unused:UNUSED_PAD src0_sel:WORD_1 src1_sel:DWORD
	v_lshrrev_b16_e32 v2, 9, v2
	v_mul_lo_u16_e32 v2, 17, v2
	v_sub_u16_sdwa v74, v111, v2 dst_sel:DWORD dst_unused:UNUSED_PAD src0_sel:WORD_1 src1_sel:DWORD
	v_mov_b32_e32 v2, 8
	v_lshlrev_b32_sdwa v18, v2, v74 dst_sel:DWORD dst_unused:UNUSED_PAD src0_sel:DWORD src1_sel:BYTE_0
	s_waitcnt lgkmcnt(0)
	s_barrier
	global_load_dwordx4 v[14:17], v18, s[8:9]
	global_load_dwordx4 v[10:13], v18, s[8:9] offset:16
	global_load_dwordx4 v[6:9], v18, s[8:9] offset:32
	;; [unrolled: 1-line block ×15, first 2 shown]
	ds_read_b128 v[18:21], v70
	ds_read_b128 v[30:33], v70 offset:1904
	ds_read_b128 v[38:41], v70 offset:3808
	;; [unrolled: 1-line block ×11, first 2 shown]
	v_mul_u32_u24_e32 v0, 0x227, v0
	v_mul_lo_u16_sdwa v0, v0, s19 dst_sel:DWORD dst_unused:UNUSED_PAD src0_sel:WORD_1 src1_sel:DWORD
	v_add_u32_sdwa v0, v74, v0 dst_sel:DWORD dst_unused:UNUSED_PAD src0_sel:BYTE_0 src1_sel:DWORD
	s_waitcnt vmcnt(15) lgkmcnt(10)
	v_mul_f64 v[46:47], v[32:33], v[16:17]
	v_mul_f64 v[108:109], v[30:31], v[16:17]
	v_fma_f64 v[72:73], v[30:31], v[14:15], -v[46:47]
	v_fmac_f64_e32 v[108:109], v[32:33], v[14:15]
	s_waitcnt vmcnt(14) lgkmcnt(9)
	v_mul_f64 v[14:15], v[40:41], v[12:13]
	v_mul_f64 v[58:59], v[38:39], v[12:13]
	v_fma_f64 v[60:61], v[38:39], v[10:11], -v[14:15]
	v_fmac_f64_e32 v[58:59], v[40:41], v[10:11]
	;; [unrolled: 5-line block ×4, first 2 shown]
	s_waitcnt vmcnt(11) lgkmcnt(6)
	v_mul_f64 v[2:3], v[102:103], v[24:25]
	v_fma_f64 v[30:31], v[100:101], v[22:23], -v[2:3]
	v_mul_f64 v[32:33], v[100:101], v[24:25]
	s_waitcnt vmcnt(10) lgkmcnt(5)
	v_mul_f64 v[2:3], v[106:107], v[28:29]
	v_mul_f64 v[24:25], v[104:105], v[28:29]
	ds_read_b128 v[92:95], v70 offset:22848
	ds_read_b128 v[96:99], v70 offset:24752
	v_fmac_f64_e32 v[32:33], v[102:103], v[22:23]
	v_fma_f64 v[22:23], v[104:105], v[26:27], -v[2:3]
	v_fmac_f64_e32 v[24:25], v[106:107], v[26:27]
	ds_read_b128 v[100:103], v70 offset:26656
	ds_read_b128 v[104:107], v70 offset:28560
	s_waitcnt vmcnt(9) lgkmcnt(8)
	v_mul_f64 v[2:3], v[114:115], v[36:37]
	v_mul_f64 v[12:13], v[112:113], v[36:37]
	v_fma_f64 v[10:11], v[112:113], v[34:35], -v[2:3]
	v_fmac_f64_e32 v[12:13], v[114:115], v[34:35]
	ds_read_b128 v[112:115], v70 offset:30464
	s_waitcnt vmcnt(6) lgkmcnt(6)
	v_mul_f64 v[14:15], v[126:127], v[56:57]
	v_mul_f64 v[16:17], v[124:125], v[56:57]
	v_fma_f64 v[14:15], v[124:125], v[54:55], -v[14:15]
	v_fmac_f64_e32 v[16:17], v[126:127], v[54:55]
	s_waitcnt vmcnt(5) lgkmcnt(5)
	v_mul_f64 v[26:27], v[130:131], v[64:65]
	v_mul_f64 v[28:29], v[128:129], v[64:65]
	s_waitcnt vmcnt(1) lgkmcnt(1)
	v_mul_f64 v[54:55], v[106:107], v[86:87]
	v_fma_f64 v[26:27], v[128:129], v[62:63], -v[26:27]
	v_fmac_f64_e32 v[28:29], v[130:131], v[62:63]
	v_mul_f64 v[34:35], v[94:95], v[68:69]
	v_mul_f64 v[36:37], v[92:93], v[68:69]
	v_fma_f64 v[62:63], v[104:105], v[84:85], -v[54:55]
	s_waitcnt vmcnt(0) lgkmcnt(0)
	v_mul_f64 v[54:55], v[114:115], v[90:91]
	v_add_f64 v[56:57], v[20:21], v[108:109]
	v_fma_f64 v[34:35], v[92:93], v[66:67], -v[34:35]
	v_fmac_f64_e32 v[36:37], v[94:95], v[66:67]
	v_fma_f64 v[66:67], v[112:113], v[88:89], -v[54:55]
	v_add_f64 v[54:55], v[18:19], v[72:73]
	v_add_f64 v[56:57], v[56:57], v[58:59]
	;; [unrolled: 1-line block ×8, first 2 shown]
	v_mul_f64 v[4:5], v[116:117], v[44:45]
	v_add_f64 v[54:55], v[54:55], v[30:31]
	v_add_f64 v[56:57], v[56:57], v[24:25]
	v_mul_f64 v[2:3], v[118:119], v[44:45]
	v_fmac_f64_e32 v[4:5], v[118:119], v[42:43]
	v_mul_f64 v[8:9], v[120:121], v[52:53]
	v_add_f64 v[54:55], v[54:55], v[22:23]
	v_add_f64 v[56:57], v[56:57], v[12:13]
	v_fma_f64 v[2:3], v[116:117], v[42:43], -v[2:3]
	v_mul_f64 v[6:7], v[122:123], v[52:53]
	v_fmac_f64_e32 v[8:9], v[122:123], v[50:51]
	v_add_f64 v[54:55], v[54:55], v[10:11]
	v_add_f64 v[56:57], v[56:57], v[4:5]
	v_fma_f64 v[6:7], v[120:121], v[50:51], -v[6:7]
	v_add_f64 v[54:55], v[54:55], v[2:3]
	v_add_f64 v[56:57], v[56:57], v[8:9]
	v_mul_f64 v[42:43], v[98:99], v[78:79]
	v_add_f64 v[54:55], v[54:55], v[6:7]
	v_add_f64 v[56:57], v[56:57], v[16:17]
	v_fma_f64 v[44:45], v[96:97], v[76:77], -v[42:43]
	v_mul_f64 v[42:43], v[96:97], v[78:79]
	v_mul_f64 v[50:51], v[102:103], v[82:83]
	v_add_f64 v[54:55], v[54:55], v[14:15]
	v_add_f64 v[56:57], v[56:57], v[28:29]
	v_fmac_f64_e32 v[42:43], v[98:99], v[76:77]
	v_fma_f64 v[52:53], v[100:101], v[80:81], -v[50:51]
	v_mul_f64 v[50:51], v[100:101], v[82:83]
	v_add_f64 v[54:55], v[54:55], v[26:27]
	v_add_f64 v[56:57], v[56:57], v[36:37]
	v_fmac_f64_e32 v[50:51], v[102:103], v[80:81]
	v_mul_f64 v[64:65], v[104:105], v[86:87]
	v_add_f64 v[54:55], v[54:55], v[34:35]
	v_add_f64 v[56:57], v[56:57], v[42:43]
	v_fmac_f64_e32 v[64:65], v[106:107], v[84:85]
	;; [unrolled: 4-line block ×3, first 2 shown]
	v_add_f64 v[54:55], v[54:55], v[52:53]
	v_add_f64 v[56:57], v[56:57], v[64:65]
	;; [unrolled: 1-line block ×5, first 2 shown]
	v_add_f64 v[68:69], v[108:109], -v[68:69]
	v_add_f64 v[54:55], v[54:55], v[66:67]
	v_add_f64 v[76:77], v[72:73], v[66:67]
	v_add_f64 v[66:67], v[72:73], -v[66:67]
	v_mul_f64 v[72:73], v[68:69], s[28:29]
	v_mul_f64 v[86:87], v[68:69], s[36:37]
	;; [unrolled: 1-line block ×8, first 2 shown]
	v_fma_f64 v[80:81], v[76:77], s[14:15], -v[72:73]
	v_mul_f64 v[82:83], v[66:67], s[28:29]
	v_fmac_f64_e32 v[72:73], s[14:15], v[76:77]
	v_fma_f64 v[88:89], v[76:77], s[10:11], -v[86:87]
	v_mul_f64 v[90:91], v[66:67], s[36:37]
	v_fmac_f64_e32 v[86:87], s[10:11], v[76:77]
	v_fma_f64 v[96:97], v[76:77], s[4:5], -v[94:95]
	v_fmac_f64_e32 v[94:95], s[4:5], v[76:77]
	v_fma_f64 v[100:101], v[76:77], s[2:3], -v[98:99]
	;; [unrolled: 2-line block ×6, first 2 shown]
	v_fmac_f64_e32 v[68:69], s[42:43], v[76:77]
	v_mul_f64 v[76:77], v[66:67], s[38:39]
	v_mul_f64 v[120:121], v[66:67], s[34:35]
	;; [unrolled: 1-line block ×6, first 2 shown]
	v_fma_f64 v[84:85], s[14:15], v[78:79], v[82:83]
	v_fma_f64 v[82:83], v[78:79], s[14:15], -v[82:83]
	v_fma_f64 v[92:93], s[10:11], v[78:79], v[90:91]
	v_fma_f64 v[90:91], v[78:79], s[10:11], -v[90:91]
	v_fma_f64 v[118:119], s[4:5], v[78:79], v[76:77]
	v_fma_f64 v[76:77], v[78:79], s[4:5], -v[76:77]
	v_fma_f64 v[122:123], s[2:3], v[78:79], v[120:121]
	v_fma_f64 v[120:121], v[78:79], s[2:3], -v[120:121]
	v_fma_f64 v[126:127], s[12:13], v[78:79], v[124:125]
	v_fma_f64 v[124:125], v[78:79], s[12:13], -v[124:125]
	v_fma_f64 v[130:131], s[22:23], v[78:79], v[128:129]
	v_fma_f64 v[128:129], v[78:79], s[22:23], -v[128:129]
	v_fma_f64 v[134:135], s[40:41], v[78:79], v[132:133]
	v_fma_f64 v[132:133], v[78:79], s[40:41], -v[132:133]
	v_fma_f64 v[136:137], s[42:43], v[78:79], v[66:67]
	v_fma_f64 v[66:67], v[78:79], s[42:43], -v[66:67]
	v_add_f64 v[78:79], v[18:19], v[80:81]
	v_add_f64 v[80:81], v[20:21], v[84:85]
	;; [unrolled: 1-line block ×20, first 2 shown]
	v_add_f64 v[60:61], v[60:61], -v[62:63]
	v_add_f64 v[62:63], v[58:59], v[64:65]
	v_add_f64 v[58:59], v[58:59], -v[64:65]
	v_mul_f64 v[64:65], v[58:59], s[36:37]
	v_add_f64 v[72:73], v[18:19], v[72:73]
	v_add_f64 v[86:87], v[18:19], v[86:87]
	v_add_f64 v[94:95], v[18:19], v[94:95]
	v_add_f64 v[100:101], v[18:19], v[100:101]
	v_add_f64 v[98:99], v[18:19], v[98:99]
	v_add_f64 v[104:105], v[18:19], v[104:105]
	v_add_f64 v[102:103], v[18:19], v[102:103]
	v_add_f64 v[108:109], v[18:19], v[108:109]
	v_add_f64 v[106:107], v[18:19], v[106:107]
	v_add_f64 v[114:115], v[18:19], v[114:115]
	v_add_f64 v[112:113], v[18:19], v[112:113]
	v_add_f64 v[116:117], v[18:19], v[116:117]
	v_add_f64 v[18:19], v[18:19], v[68:69]
	v_fma_f64 v[68:69], v[66:67], s[10:11], -v[64:65]
	v_add_f64 v[68:69], v[68:69], v[78:79]
	v_mul_f64 v[78:79], v[60:61], s[36:37]
	v_fmac_f64_e32 v[64:65], s[10:11], v[66:67]
	v_fma_f64 v[136:137], s[10:11], v[62:63], v[78:79]
	v_add_f64 v[64:65], v[64:65], v[72:73]
	v_fma_f64 v[72:73], v[62:63], s[10:11], -v[78:79]
	v_mul_f64 v[78:79], v[58:59], s[34:35]
	v_add_f64 v[72:73], v[72:73], v[82:83]
	v_fma_f64 v[82:83], v[66:67], s[2:3], -v[78:79]
	v_add_f64 v[82:83], v[82:83], v[84:85]
	v_mul_f64 v[84:85], v[60:61], s[34:35]
	v_fmac_f64_e32 v[78:79], s[2:3], v[66:67]
	v_add_f64 v[80:81], v[136:137], v[80:81]
	v_fma_f64 v[136:137], s[2:3], v[62:63], v[84:85]
	v_add_f64 v[78:79], v[78:79], v[86:87]
	v_fma_f64 v[84:85], v[62:63], s[2:3], -v[84:85]
	v_mul_f64 v[86:87], v[58:59], s[26:27]
	v_add_f64 v[84:85], v[84:85], v[90:91]
	v_fma_f64 v[90:91], v[66:67], s[22:23], -v[86:87]
	v_add_f64 v[90:91], v[90:91], v[92:93]
	v_mul_f64 v[92:93], v[60:61], s[26:27]
	v_add_f64 v[88:89], v[136:137], v[88:89]
	v_fma_f64 v[136:137], s[22:23], v[62:63], v[92:93]
	v_fma_f64 v[92:93], v[62:63], s[22:23], -v[92:93]
	v_fmac_f64_e32 v[86:87], s[22:23], v[66:67]
	v_add_f64 v[76:77], v[92:93], v[76:77]
	v_mul_f64 v[92:93], v[58:59], s[44:45]
	v_add_f64 v[86:87], v[86:87], v[94:95]
	v_fma_f64 v[94:95], v[66:67], s[42:43], -v[92:93]
	v_add_f64 v[94:95], v[94:95], v[100:101]
	v_mul_f64 v[100:101], v[60:61], s[44:45]
	v_fmac_f64_e32 v[92:93], s[42:43], v[66:67]
	v_add_f64 v[96:97], v[136:137], v[96:97]
	v_fma_f64 v[136:137], s[42:43], v[62:63], v[100:101]
	v_add_f64 v[92:93], v[92:93], v[98:99]
	v_fma_f64 v[98:99], v[62:63], s[42:43], -v[100:101]
	v_mul_f64 v[100:101], v[58:59], s[54:55]
	v_add_f64 v[98:99], v[98:99], v[120:121]
	v_fma_f64 v[120:121], v[66:67], s[40:41], -v[100:101]
	v_add_f64 v[104:105], v[120:121], v[104:105]
	v_mul_f64 v[120:121], v[60:61], s[54:55]
	v_fmac_f64_e32 v[100:101], s[40:41], v[66:67]
	v_add_f64 v[118:119], v[136:137], v[118:119]
	v_fma_f64 v[136:137], s[40:41], v[62:63], v[120:121]
	v_add_f64 v[100:101], v[100:101], v[102:103]
	v_fma_f64 v[102:103], v[62:63], s[40:41], -v[120:121]
	;; [unrolled: 10-line block ×3, first 2 shown]
	v_mul_f64 v[124:125], v[58:59], s[46:47]
	v_add_f64 v[120:121], v[120:121], v[128:129]
	v_fma_f64 v[128:129], v[66:67], s[4:5], -v[124:125]
	v_add_f64 v[114:115], v[128:129], v[114:115]
	v_mul_f64 v[128:129], v[60:61], s[46:47]
	v_fmac_f64_e32 v[124:125], s[4:5], v[66:67]
	v_mul_f64 v[58:59], v[58:59], s[48:49]
	v_add_f64 v[126:127], v[136:137], v[126:127]
	v_fma_f64 v[136:137], s[4:5], v[62:63], v[128:129]
	v_add_f64 v[112:113], v[124:125], v[112:113]
	v_fma_f64 v[124:125], v[62:63], s[4:5], -v[128:129]
	v_fma_f64 v[128:129], v[66:67], s[14:15], -v[58:59]
	v_mul_f64 v[60:61], v[60:61], s[48:49]
	v_fmac_f64_e32 v[58:59], s[14:15], v[66:67]
	v_add_f64 v[18:19], v[58:59], v[18:19]
	v_fma_f64 v[58:59], v[62:63], s[14:15], -v[60:61]
	v_add_f64 v[20:21], v[58:59], v[20:21]
	v_add_f64 v[58:59], v[48:49], v[52:53]
	v_add_f64 v[48:49], v[48:49], -v[52:53]
	v_add_f64 v[116:117], v[128:129], v[116:117]
	v_fma_f64 v[128:129], s[14:15], v[62:63], v[60:61]
	v_add_f64 v[52:53], v[46:47], v[50:51]
	v_add_f64 v[46:47], v[46:47], -v[50:51]
	v_mul_f64 v[62:63], v[48:49], s[38:39]
	v_mul_f64 v[50:51], v[46:47], s[38:39]
	v_fma_f64 v[66:67], s[4:5], v[52:53], v[62:63]
	v_fma_f64 v[62:63], v[52:53], s[4:5], -v[62:63]
	v_fma_f64 v[60:61], v[58:59], s[4:5], -v[50:51]
	v_fmac_f64_e32 v[50:51], s[4:5], v[58:59]
	v_add_f64 v[62:63], v[62:63], v[72:73]
	v_mul_f64 v[72:73], v[48:49], s[26:27]
	v_add_f64 v[66:67], v[66:67], v[80:81]
	v_add_f64 v[50:51], v[50:51], v[64:65]
	v_mul_f64 v[64:65], v[46:47], s[26:27]
	v_fma_f64 v[80:81], s[22:23], v[52:53], v[72:73]
	v_fma_f64 v[72:73], v[52:53], s[22:23], -v[72:73]
	v_add_f64 v[60:61], v[60:61], v[68:69]
	v_fma_f64 v[68:69], v[58:59], s[22:23], -v[64:65]
	v_fmac_f64_e32 v[64:65], s[22:23], v[58:59]
	v_add_f64 v[72:73], v[72:73], v[84:85]
	v_mul_f64 v[84:85], v[48:49], s[60:61]
	v_add_f64 v[80:81], v[80:81], v[88:89]
	v_add_f64 v[64:65], v[64:65], v[78:79]
	v_mul_f64 v[78:79], v[46:47], s[60:61]
	v_fma_f64 v[88:89], s[42:43], v[52:53], v[84:85]
	v_fma_f64 v[84:85], v[52:53], s[42:43], -v[84:85]
	v_add_f64 v[68:69], v[68:69], v[82:83]
	v_fma_f64 v[82:83], v[58:59], s[42:43], -v[78:79]
	v_fmac_f64_e32 v[78:79], s[42:43], v[58:59]
	v_add_f64 v[76:77], v[84:85], v[76:77]
	v_mul_f64 v[84:85], v[46:47], s[52:53]
	v_add_f64 v[82:83], v[82:83], v[90:91]
	v_add_f64 v[78:79], v[78:79], v[86:87]
	v_fma_f64 v[86:87], v[58:59], s[12:13], -v[84:85]
	v_mul_f64 v[90:91], v[48:49], s[52:53]
	v_fmac_f64_e32 v[84:85], s[12:13], v[58:59]
	v_add_f64 v[86:87], v[86:87], v[94:95]
	v_fma_f64 v[94:95], s[12:13], v[52:53], v[90:91]
	v_add_f64 v[84:85], v[84:85], v[92:93]
	v_fma_f64 v[90:91], v[52:53], s[12:13], -v[90:91]
	v_mul_f64 v[92:93], v[46:47], s[50:51]
	v_add_f64 v[88:89], v[88:89], v[96:97]
	v_add_f64 v[90:91], v[90:91], v[98:99]
	v_fma_f64 v[96:97], v[58:59], s[10:11], -v[92:93]
	v_mul_f64 v[98:99], v[48:49], s[50:51]
	v_fmac_f64_e32 v[92:93], s[10:11], v[58:59]
	v_add_f64 v[96:97], v[96:97], v[104:105]
	v_fma_f64 v[104:105], s[10:11], v[52:53], v[98:99]
	v_add_f64 v[92:93], v[92:93], v[100:101]
	v_fma_f64 v[98:99], v[52:53], s[10:11], -v[98:99]
	v_mul_f64 v[100:101], v[46:47], s[28:29]
	v_add_f64 v[98:99], v[98:99], v[102:103]
	v_fma_f64 v[102:103], v[58:59], s[14:15], -v[100:101]
	v_add_f64 v[102:103], v[102:103], v[108:109]
	v_mul_f64 v[108:109], v[48:49], s[28:29]
	v_fmac_f64_e32 v[100:101], s[14:15], v[58:59]
	v_add_f64 v[94:95], v[94:95], v[118:119]
	v_fma_f64 v[118:119], s[14:15], v[52:53], v[108:109]
	v_add_f64 v[100:101], v[100:101], v[106:107]
	v_fma_f64 v[106:107], v[52:53], s[14:15], -v[108:109]
	v_mul_f64 v[108:109], v[46:47], s[34:35]
	v_add_f64 v[106:107], v[106:107], v[120:121]
	v_fma_f64 v[120:121], v[58:59], s[2:3], -v[108:109]
	v_add_f64 v[114:115], v[120:121], v[114:115]
	v_mul_f64 v[120:121], v[48:49], s[34:35]
	v_fmac_f64_e32 v[108:109], s[2:3], v[58:59]
	v_mul_f64 v[46:47], v[46:47], s[30:31]
	v_add_f64 v[104:105], v[104:105], v[122:123]
	v_fma_f64 v[122:123], s[2:3], v[52:53], v[120:121]
	v_add_f64 v[108:109], v[108:109], v[112:113]
	v_fma_f64 v[112:113], v[52:53], s[2:3], -v[120:121]
	v_fma_f64 v[120:121], v[58:59], s[40:41], -v[46:47]
	v_mul_f64 v[48:49], v[48:49], s[30:31]
	v_fmac_f64_e32 v[46:47], s[40:41], v[58:59]
	v_add_f64 v[18:19], v[46:47], v[18:19]
	v_fma_f64 v[46:47], v[52:53], s[40:41], -v[48:49]
	v_add_f64 v[20:21], v[46:47], v[20:21]
	v_add_f64 v[46:47], v[40:41], v[44:45]
	v_add_f64 v[40:41], v[40:41], -v[44:45]
	v_add_f64 v[44:45], v[38:39], v[42:43]
	v_add_f64 v[38:39], v[38:39], -v[42:43]
	v_mul_f64 v[42:43], v[38:39], s[34:35]
	v_add_f64 v[116:117], v[120:121], v[116:117]
	v_fma_f64 v[120:121], s[40:41], v[52:53], v[48:49]
	v_fma_f64 v[48:49], v[46:47], s[2:3], -v[42:43]
	v_mul_f64 v[52:53], v[40:41], s[34:35]
	v_fmac_f64_e32 v[42:43], s[2:3], v[46:47]
	v_add_f64 v[42:43], v[42:43], v[50:51]
	v_fma_f64 v[50:51], v[44:45], s[2:3], -v[52:53]
	v_fma_f64 v[58:59], s[2:3], v[44:45], v[52:53]
	v_add_f64 v[50:51], v[50:51], v[62:63]
	v_mul_f64 v[62:63], v[40:41], s[44:45]
	v_add_f64 v[58:59], v[58:59], v[66:67]
	v_mul_f64 v[52:53], v[38:39], s[44:45]
	v_fma_f64 v[66:67], s[42:43], v[44:45], v[62:63]
	v_fma_f64 v[62:63], v[44:45], s[42:43], -v[62:63]
	v_add_f64 v[48:49], v[48:49], v[60:61]
	v_fma_f64 v[60:61], v[46:47], s[42:43], -v[52:53]
	v_fmac_f64_e32 v[52:53], s[42:43], v[46:47]
	v_add_f64 v[62:63], v[62:63], v[72:73]
	v_mul_f64 v[72:73], v[40:41], s[52:53]
	v_add_f64 v[66:67], v[66:67], v[80:81]
	v_add_f64 v[52:53], v[52:53], v[64:65]
	v_mul_f64 v[64:65], v[38:39], s[52:53]
	v_fma_f64 v[80:81], s[12:13], v[44:45], v[72:73]
	v_fma_f64 v[72:73], v[44:45], s[12:13], -v[72:73]
	v_add_f64 v[60:61], v[60:61], v[68:69]
	v_fma_f64 v[68:69], v[46:47], s[12:13], -v[64:65]
	v_fmac_f64_e32 v[64:65], s[12:13], v[46:47]
	v_add_f64 v[76:77], v[72:73], v[76:77]
	v_mul_f64 v[72:73], v[38:39], s[48:49]
	v_add_f64 v[68:69], v[68:69], v[82:83]
	v_add_f64 v[64:65], v[64:65], v[78:79]
	v_fma_f64 v[78:79], v[46:47], s[14:15], -v[72:73]
	v_mul_f64 v[82:83], v[40:41], s[48:49]
	v_fmac_f64_e32 v[72:73], s[14:15], v[46:47]
	v_add_f64 v[84:85], v[72:73], v[84:85]
	v_fma_f64 v[72:73], v[44:45], s[14:15], -v[82:83]
	v_add_f64 v[78:79], v[78:79], v[86:87]
	v_fma_f64 v[86:87], s[14:15], v[44:45], v[82:83]
	v_add_f64 v[82:83], v[72:73], v[90:91]
	v_mul_f64 v[72:73], v[38:39], s[38:39]
	v_add_f64 v[80:81], v[80:81], v[88:89]
	v_fma_f64 v[88:89], v[46:47], s[4:5], -v[72:73]
	v_mul_f64 v[90:91], v[40:41], s[38:39]
	v_fmac_f64_e32 v[72:73], s[4:5], v[46:47]
	v_add_f64 v[92:93], v[72:73], v[92:93]
	v_fma_f64 v[72:73], v[44:45], s[4:5], -v[90:91]
	v_add_f64 v[86:87], v[86:87], v[94:95]
	v_fma_f64 v[94:95], s[4:5], v[44:45], v[90:91]
	v_add_f64 v[90:91], v[72:73], v[98:99]
	v_mul_f64 v[72:73], v[38:39], s[30:31]
	;; [unrolled: 10-line block ×3, first 2 shown]
	v_add_f64 v[94:95], v[94:95], v[104:105]
	v_fma_f64 v[104:105], v[46:47], s[22:23], -v[72:73]
	v_fmac_f64_e32 v[72:73], s[22:23], v[46:47]
	v_add_f64 v[124:125], v[124:125], v[132:133]
	v_mul_f64 v[106:107], v[40:41], s[56:57]
	v_add_f64 v[108:109], v[72:73], v[108:109]
	v_mul_lo_u32 v70, s1, v110
	v_mul_hi_u32 v72, s0, v110
	v_mul_f64 v[38:39], v[38:39], s[50:51]
	v_add_f64 v[112:113], v[112:113], v[124:125]
	v_add_f64 v[104:105], v[104:105], v[114:115]
	v_fma_f64 v[114:115], s[22:23], v[44:45], v[106:107]
	v_add_u32_e32 v73, v72, v70
	v_mul_lo_u32 v72, s0, v110
	v_fma_f64 v[106:107], v[44:45], s[22:23], -v[106:107]
	v_fma_f64 v[110:111], v[46:47], s[10:11], -v[38:39]
	v_mul_f64 v[40:41], v[40:41], s[50:51]
	v_fmac_f64_e32 v[38:39], s[10:11], v[46:47]
	v_add_f64 v[106:107], v[106:107], v[112:113]
	v_fma_f64 v[112:113], s[10:11], v[44:45], v[40:41]
	v_add_f64 v[18:19], v[38:39], v[18:19]
	v_fma_f64 v[38:39], v[44:45], s[10:11], -v[40:41]
	v_add_f64 v[40:41], v[32:33], v[36:37]
	v_add_f64 v[32:33], v[32:33], -v[36:37]
	v_add_f64 v[20:21], v[38:39], v[20:21]
	v_add_f64 v[38:39], v[30:31], v[34:35]
	v_add_f64 v[30:31], v[30:31], -v[34:35]
	v_mul_f64 v[34:35], v[32:33], s[20:21]
	v_fma_f64 v[36:37], v[38:39], s[12:13], -v[34:35]
	v_mul_f64 v[44:45], v[30:31], s[20:21]
	v_fmac_f64_e32 v[34:35], s[12:13], v[38:39]
	v_fma_f64 v[46:47], s[12:13], v[40:41], v[44:45]
	v_add_f64 v[34:35], v[34:35], v[42:43]
	v_fma_f64 v[42:43], v[40:41], s[12:13], -v[44:45]
	v_mul_f64 v[44:45], v[32:33], s[54:55]
	v_add_f64 v[36:37], v[36:37], v[48:49]
	v_add_f64 v[42:43], v[42:43], v[50:51]
	v_fma_f64 v[48:49], v[38:39], s[40:41], -v[44:45]
	v_mul_f64 v[50:51], v[30:31], s[54:55]
	v_fmac_f64_e32 v[44:45], s[40:41], v[38:39]
	v_add_f64 v[46:47], v[46:47], v[58:59]
	v_fma_f64 v[58:59], s[40:41], v[40:41], v[50:51]
	v_add_f64 v[44:45], v[44:45], v[52:53]
	v_fma_f64 v[50:51], v[40:41], s[40:41], -v[50:51]
	v_mul_f64 v[52:53], v[32:33], s[50:51]
	v_add_f64 v[48:49], v[48:49], v[60:61]
	v_add_f64 v[50:51], v[50:51], v[62:63]
	v_fma_f64 v[60:61], v[38:39], s[10:11], -v[52:53]
	v_mul_f64 v[62:63], v[30:31], s[50:51]
	v_fmac_f64_e32 v[52:53], s[10:11], v[38:39]
	v_add_f64 v[58:59], v[58:59], v[66:67]
	v_fma_f64 v[66:67], s[10:11], v[40:41], v[62:63]
	v_add_f64 v[52:53], v[52:53], v[64:65]
	v_fma_f64 v[62:63], v[40:41], s[10:11], -v[62:63]
	v_mul_f64 v[64:65], v[32:33], s[38:39]
	v_add_f64 v[60:61], v[60:61], v[68:69]
	v_add_f64 v[62:63], v[62:63], v[76:77]
	v_fma_f64 v[68:69], v[38:39], s[4:5], -v[64:65]
	v_mul_f64 v[76:77], v[30:31], s[38:39]
	v_add_f64 v[66:67], v[66:67], v[80:81]
	v_add_f64 v[68:69], v[68:69], v[78:79]
	v_fma_f64 v[78:79], s[4:5], v[40:41], v[76:77]
	v_fmac_f64_e32 v[64:65], s[4:5], v[38:39]
	v_fma_f64 v[76:77], v[40:41], s[4:5], -v[76:77]
	v_mul_f64 v[80:81], v[32:33], s[44:45]
	v_add_f64 v[64:65], v[64:65], v[84:85]
	v_add_f64 v[76:77], v[76:77], v[82:83]
	v_fma_f64 v[82:83], v[38:39], s[42:43], -v[80:81]
	v_mul_f64 v[84:85], v[30:31], s[44:45]
	v_add_f64 v[78:79], v[78:79], v[86:87]
	v_add_f64 v[82:83], v[82:83], v[88:89]
	v_fma_f64 v[86:87], s[42:43], v[40:41], v[84:85]
	v_fmac_f64_e32 v[80:81], s[42:43], v[38:39]
	v_fma_f64 v[84:85], v[40:41], s[42:43], -v[84:85]
	v_mul_f64 v[88:89], v[32:33], s[58:59]
	v_add_f64 v[80:81], v[80:81], v[92:93]
	v_add_f64 v[84:85], v[84:85], v[90:91]
	v_fma_f64 v[90:91], v[38:39], s[2:3], -v[88:89]
	v_mul_f64 v[92:93], v[30:31], s[58:59]
	v_add_f64 v[118:119], v[118:119], v[126:127]
	v_add_f64 v[86:87], v[86:87], v[94:95]
	;; [unrolled: 1-line block ×3, first 2 shown]
	v_fma_f64 v[94:95], s[2:3], v[40:41], v[92:93]
	v_fmac_f64_e32 v[88:89], s[2:3], v[38:39]
	v_fma_f64 v[92:93], v[40:41], s[2:3], -v[92:93]
	v_mul_f64 v[96:97], v[32:33], s[28:29]
	v_add_f64 v[102:103], v[102:103], v[118:119]
	v_add_f64 v[88:89], v[88:89], v[100:101]
	;; [unrolled: 1-line block ×3, first 2 shown]
	v_fma_f64 v[98:99], v[38:39], s[14:15], -v[96:97]
	v_mul_f64 v[100:101], v[30:31], s[28:29]
	v_mul_f64 v[32:33], v[32:33], s[26:27]
	v_add_f64 v[94:95], v[94:95], v[102:103]
	v_add_f64 v[98:99], v[98:99], v[104:105]
	v_fma_f64 v[102:103], s[14:15], v[40:41], v[100:101]
	v_fma_f64 v[100:101], v[40:41], s[14:15], -v[100:101]
	v_fma_f64 v[104:105], v[38:39], s[22:23], -v[32:33]
	v_mul_f64 v[30:31], v[30:31], s[26:27]
	v_fmac_f64_e32 v[32:33], s[22:23], v[38:39]
	v_add_f64 v[100:101], v[100:101], v[106:107]
	v_fma_f64 v[106:107], s[22:23], v[40:41], v[30:31]
	v_add_f64 v[18:19], v[32:33], v[18:19]
	v_fma_f64 v[30:31], v[40:41], s[22:23], -v[30:31]
	v_add_f64 v[32:33], v[24:25], v[28:29]
	v_add_f64 v[24:25], v[24:25], -v[28:29]
	v_add_f64 v[20:21], v[30:31], v[20:21]
	v_add_f64 v[30:31], v[22:23], v[26:27]
	v_add_f64 v[22:23], v[22:23], -v[26:27]
	v_mul_f64 v[26:27], v[24:25], s[26:27]
	v_fma_f64 v[28:29], v[30:31], s[22:23], -v[26:27]
	v_add_f64 v[28:29], v[28:29], v[36:37]
	v_mul_f64 v[36:37], v[22:23], s[26:27]
	v_fmac_f64_e32 v[26:27], s[22:23], v[30:31]
	v_fmac_f64_e32 v[96:97], s[14:15], v[38:39]
	v_fma_f64 v[38:39], s[22:23], v[32:33], v[36:37]
	v_add_f64 v[26:27], v[26:27], v[34:35]
	v_fma_f64 v[34:35], v[32:33], s[22:23], -v[36:37]
	v_mul_f64 v[36:37], v[24:25], s[52:53]
	v_fma_f64 v[40:41], v[30:31], s[12:13], -v[36:37]
	v_fmac_f64_e32 v[36:37], s[12:13], v[30:31]
	v_add_f64 v[34:35], v[34:35], v[42:43]
	v_mul_f64 v[42:43], v[22:23], s[52:53]
	v_add_f64 v[36:37], v[36:37], v[44:45]
	v_mul_f64 v[44:45], v[24:25], s[28:29]
	v_add_f64 v[38:39], v[38:39], v[46:47]
	v_add_f64 v[40:41], v[40:41], v[48:49]
	v_fma_f64 v[46:47], s[12:13], v[32:33], v[42:43]
	v_fma_f64 v[42:43], v[32:33], s[12:13], -v[42:43]
	v_fma_f64 v[48:49], v[30:31], s[14:15], -v[44:45]
	v_fmac_f64_e32 v[44:45], s[14:15], v[30:31]
	v_add_f64 v[42:43], v[42:43], v[50:51]
	v_mul_f64 v[50:51], v[22:23], s[28:29]
	v_add_f64 v[44:45], v[44:45], v[52:53]
	v_mul_f64 v[52:53], v[24:25], s[30:31]
	v_add_f64 v[46:47], v[46:47], v[58:59]
	v_add_f64 v[48:49], v[48:49], v[60:61]
	v_fma_f64 v[58:59], s[14:15], v[32:33], v[50:51]
	v_fma_f64 v[50:51], v[32:33], s[14:15], -v[50:51]
	;; [unrolled: 10-line block ×4, first 2 shown]
	v_fma_f64 v[82:83], v[30:31], s[10:11], -v[80:81]
	v_fmac_f64_e32 v[80:81], s[10:11], v[30:31]
	v_add_f64 v[76:77], v[76:77], v[84:85]
	v_mul_f64 v[84:85], v[22:23], s[36:37]
	v_add_f64 v[80:81], v[80:81], v[88:89]
	v_mul_f64 v[88:89], v[24:25], s[44:45]
	v_add_f64 v[96:97], v[96:97], v[108:109]
	v_add_f64 v[78:79], v[78:79], v[86:87]
	;; [unrolled: 1-line block ×3, first 2 shown]
	v_fma_f64 v[86:87], s[10:11], v[32:33], v[84:85]
	v_fma_f64 v[84:85], v[32:33], s[10:11], -v[84:85]
	v_fma_f64 v[90:91], v[30:31], s[42:43], -v[88:89]
	v_fmac_f64_e32 v[88:89], s[42:43], v[30:31]
	v_mul_f64 v[24:25], v[24:25], s[46:47]
	v_add_f64 v[84:85], v[84:85], v[92:93]
	v_mul_f64 v[92:93], v[22:23], s[44:45]
	v_add_f64 v[88:89], v[88:89], v[96:97]
	v_fma_f64 v[96:97], v[30:31], s[4:5], -v[24:25]
	v_mul_f64 v[22:23], v[22:23], s[46:47]
	v_fmac_f64_e32 v[24:25], s[4:5], v[30:31]
	v_add_f64 v[90:91], v[90:91], v[98:99]
	v_fma_f64 v[98:99], s[4:5], v[32:33], v[22:23]
	v_add_f64 v[18:19], v[24:25], v[18:19]
	v_fma_f64 v[22:23], v[32:33], s[4:5], -v[22:23]
	v_add_f64 v[24:25], v[12:13], v[16:17]
	v_add_f64 v[12:13], v[12:13], -v[16:17]
	v_add_f64 v[20:21], v[22:23], v[20:21]
	v_add_f64 v[22:23], v[10:11], v[14:15]
	v_add_f64 v[10:11], v[10:11], -v[14:15]
	v_mul_f64 v[14:15], v[12:13], s[30:31]
	v_fma_f64 v[16:17], v[22:23], s[40:41], -v[14:15]
	v_add_f64 v[16:17], v[16:17], v[28:29]
	v_mul_f64 v[28:29], v[10:11], s[30:31]
	v_fmac_f64_e32 v[14:15], s[40:41], v[22:23]
	v_fma_f64 v[30:31], s[40:41], v[24:25], v[28:29]
	v_add_f64 v[14:15], v[14:15], v[26:27]
	v_fma_f64 v[26:27], v[24:25], s[40:41], -v[28:29]
	v_mul_f64 v[28:29], v[12:13], s[46:47]
	v_add_f64 v[86:87], v[86:87], v[94:95]
	v_fma_f64 v[94:95], s[42:43], v[32:33], v[92:93]
	v_fma_f64 v[92:93], v[32:33], s[42:43], -v[92:93]
	v_add_f64 v[26:27], v[26:27], v[34:35]
	v_fma_f64 v[32:33], v[22:23], s[4:5], -v[28:29]
	v_mul_f64 v[34:35], v[10:11], s[46:47]
	v_fmac_f64_e32 v[28:29], s[4:5], v[22:23]
	v_add_f64 v[30:31], v[30:31], v[38:39]
	v_fma_f64 v[38:39], s[4:5], v[24:25], v[34:35]
	v_add_f64 v[28:29], v[28:29], v[36:37]
	v_fma_f64 v[34:35], v[24:25], s[4:5], -v[34:35]
	v_mul_f64 v[36:37], v[12:13], s[34:35]
	v_add_f64 v[32:33], v[32:33], v[40:41]
	v_add_f64 v[34:35], v[34:35], v[42:43]
	v_fma_f64 v[40:41], v[22:23], s[2:3], -v[36:37]
	v_mul_f64 v[42:43], v[10:11], s[34:35]
	v_fmac_f64_e32 v[36:37], s[2:3], v[22:23]
	v_add_f64 v[130:131], v[136:137], v[130:131]
	v_add_f64 v[38:39], v[38:39], v[46:47]
	v_fma_f64 v[46:47], s[2:3], v[24:25], v[42:43]
	v_add_f64 v[36:37], v[36:37], v[44:45]
	v_fma_f64 v[42:43], v[24:25], s[2:3], -v[42:43]
	v_mul_f64 v[44:45], v[12:13], s[56:57]
	v_add_f64 v[122:123], v[122:123], v[130:131]
	v_add_f64 v[40:41], v[40:41], v[48:49]
	;; [unrolled: 1-line block ×3, first 2 shown]
	v_fma_f64 v[48:49], v[22:23], s[22:23], -v[44:45]
	v_mul_f64 v[50:51], v[10:11], s[56:57]
	v_fmac_f64_e32 v[44:45], s[22:23], v[22:23]
	v_add_f64 v[114:115], v[114:115], v[122:123]
	v_add_f64 v[46:47], v[46:47], v[58:59]
	v_fma_f64 v[58:59], s[22:23], v[24:25], v[50:51]
	v_add_f64 v[44:45], v[44:45], v[52:53]
	v_mul_f64 v[52:53], v[12:13], s[28:29]
	v_add_f64 v[102:103], v[102:103], v[114:115]
	v_add_f64 v[92:93], v[92:93], v[100:101]
	;; [unrolled: 1-line block ×3, first 2 shown]
	v_fma_f64 v[58:59], v[22:23], s[14:15], -v[52:53]
	v_add_f64 v[94:95], v[94:95], v[102:103]
	v_add_f64 v[102:103], v[58:59], v[68:69]
	v_mul_f64 v[58:59], v[10:11], s[28:29]
	v_add_f64 v[48:49], v[48:49], v[60:61]
	v_fma_f64 v[60:61], s[14:15], v[24:25], v[58:59]
	v_fma_f64 v[58:59], v[24:25], s[14:15], -v[58:59]
	v_add_f64 v[128:129], v[128:129], v[134:135]
	v_add_f64 v[76:77], v[58:59], v[76:77]
	v_mul_f64 v[58:59], v[12:13], s[44:45]
	v_add_f64 v[120:121], v[120:121], v[128:129]
	v_add_f64 v[78:79], v[60:61], v[78:79]
	v_fma_f64 v[60:61], v[22:23], s[42:43], -v[58:59]
	v_add_f64 v[112:113], v[112:113], v[120:121]
	v_add_f64 v[82:83], v[60:61], v[82:83]
	v_mul_f64 v[60:61], v[10:11], s[44:45]
	v_fmac_f64_e32 v[58:59], s[42:43], v[22:23]
	v_add_f64 v[114:115], v[4:5], -v[8:9]
	v_add_f64 v[110:111], v[110:111], v[116:117]
	v_add_f64 v[106:107], v[106:107], v[112:113]
	;; [unrolled: 1-line block ×3, first 2 shown]
	v_fma_f64 v[58:59], v[24:25], s[42:43], -v[60:61]
	v_add_f64 v[108:109], v[2:3], v[6:7]
	v_add_f64 v[112:113], v[2:3], -v[6:7]
	v_mul_f64 v[2:3], v[114:115], s[44:45]
	v_add_f64 v[104:105], v[104:105], v[110:111]
	v_fma_f64 v[50:51], v[24:25], s[22:23], -v[50:51]
	v_add_f64 v[84:85], v[58:59], v[84:85]
	v_mul_f64 v[58:59], v[12:13], s[50:51]
	v_add_f64 v[110:111], v[4:5], v[8:9]
	v_fma_f64 v[4:5], v[108:109], s[42:43], -v[2:3]
	v_add_f64 v[50:51], v[50:51], v[62:63]
	v_fma_f64 v[62:63], s[42:43], v[24:25], v[60:61]
	v_fma_f64 v[60:61], v[22:23], s[10:11], -v[58:59]
	v_add_f64 v[66:67], v[4:5], v[16:17]
	v_mul_f64 v[4:5], v[112:113], s[44:45]
	v_add_f64 v[90:91], v[60:61], v[90:91]
	v_mul_f64 v[60:61], v[10:11], s[50:51]
	v_fmac_f64_e32 v[58:59], s[10:11], v[22:23]
	v_fma_f64 v[6:7], s[42:43], v[110:111], v[4:5]
	v_add_f64 v[88:89], v[58:59], v[88:89]
	v_fma_f64 v[58:59], v[24:25], s[10:11], -v[60:61]
	v_mul_f64 v[12:13], v[12:13], s[20:21]
	v_add_f64 v[68:69], v[6:7], v[30:31]
	v_mul_f64 v[6:7], v[114:115], s[48:49]
	v_add_f64 v[96:97], v[96:97], v[104:105]
	v_add_f64 v[86:87], v[62:63], v[86:87]
	v_fma_f64 v[62:63], s[10:11], v[24:25], v[60:61]
	v_add_f64 v[92:93], v[58:59], v[92:93]
	v_fma_f64 v[58:59], v[22:23], s[12:13], -v[12:13]
	v_mul_f64 v[10:11], v[10:11], s[20:21]
	v_fma_f64 v[8:9], v[108:109], s[14:15], -v[6:7]
	v_add_f64 v[94:95], v[62:63], v[94:95]
	v_add_f64 v[96:97], v[58:59], v[96:97]
	v_fma_f64 v[58:59], s[12:13], v[24:25], v[10:11]
	v_fma_f64 v[10:11], v[24:25], s[12:13], -v[10:11]
	v_add_f64 v[62:63], v[8:9], v[32:33]
	v_mul_f64 v[8:9], v[112:113], s[48:49]
	v_add_f64 v[98:99], v[98:99], v[106:107]
	v_fmac_f64_e32 v[52:53], s[14:15], v[22:23]
	v_add_f64 v[106:107], v[10:11], v[20:21]
	v_fma_f64 v[10:11], s[14:15], v[110:111], v[8:9]
	v_add_f64 v[52:53], v[52:53], v[64:65]
	v_fmac_f64_e32 v[12:13], s[12:13], v[22:23]
	v_add_f64 v[64:65], v[10:11], v[38:39]
	v_mul_f64 v[10:11], v[114:115], s[30:31]
	v_add_f64 v[104:105], v[12:13], v[18:19]
	v_fma_f64 v[12:13], v[108:109], s[40:41], -v[10:11]
	v_add_f64 v[98:99], v[58:59], v[98:99]
	v_fmac_f64_e32 v[2:3], s[42:43], v[108:109]
	v_add_f64 v[58:59], v[12:13], v[40:41]
	v_mul_f64 v[12:13], v[112:113], s[30:31]
	v_add_f64 v[2:3], v[2:3], v[14:15]
	v_fma_f64 v[14:15], s[40:41], v[110:111], v[12:13]
	v_add_f64 v[60:61], v[14:15], v[46:47]
	v_mul_f64 v[14:15], v[114:115], s[50:51]
	v_fma_f64 v[8:9], v[110:111], s[14:15], -v[8:9]
	v_fma_f64 v[16:17], v[108:109], s[10:11], -v[14:15]
	v_add_f64 v[8:9], v[8:9], v[34:35]
	v_add_f64 v[34:35], v[16:17], v[48:49]
	v_mul_f64 v[16:17], v[112:113], s[50:51]
	v_fmac_f64_e32 v[10:11], s[40:41], v[108:109]
	v_fma_f64 v[18:19], s[10:11], v[110:111], v[16:17]
	v_add_f64 v[10:11], v[10:11], v[36:37]
	v_add_f64 v[36:37], v[18:19], v[100:101]
	v_mul_f64 v[18:19], v[114:115], s[26:27]
	v_fma_f64 v[20:21], v[108:109], s[22:23], -v[18:19]
	v_add_f64 v[38:39], v[20:21], v[102:103]
	v_mul_f64 v[20:21], v[112:113], s[26:27]
	v_fma_f64 v[22:23], s[22:23], v[110:111], v[20:21]
	v_fma_f64 v[20:21], v[110:111], s[22:23], -v[20:21]
	v_add_f64 v[20:21], v[20:21], v[76:77]
	v_mad_u64_u32 v[76:77], s[0:1], s16, v1, 0
	v_mov_b32_e32 v70, v77
	v_add_f64 v[40:41], v[22:23], v[78:79]
	v_mad_u64_u32 v[78:79], s[0:1], s17, v1, v[70:71]
	s_lshl_b64 s[0:1], s[24:25], 4
	v_mul_f64 v[22:23], v[114:115], s[46:47]
	s_add_u32 s0, s6, s0
	v_fma_f64 v[12:13], v[110:111], s[40:41], -v[12:13]
	v_fma_f64 v[24:25], v[108:109], s[4:5], -v[22:23]
	v_mul_lo_u32 v70, v0, s18
	s_addc_u32 s1, s7, s1
	v_lshlrev_b64 v[0:1], 4, v[72:73]
	v_fma_f64 v[4:5], v[110:111], s[42:43], -v[4:5]
	v_add_f64 v[12:13], v[12:13], v[42:43]
	v_add_f64 v[42:43], v[24:25], v[82:83]
	v_mul_f64 v[24:25], v[112:113], s[46:47]
	v_mov_b32_e32 v77, v78
	v_lshl_add_u64 v[0:1], v[0:1], 0, s[0:1]
	v_add_f64 v[4:5], v[4:5], v[26:27]
	v_fmac_f64_e32 v[14:15], s[10:11], v[108:109]
	v_fma_f64 v[26:27], s[4:5], v[110:111], v[24:25]
	v_lshl_add_u64 v[0:1], v[76:77], 4, v[0:1]
	s_mul_i32 s0, s18, 17
	v_fmac_f64_e32 v[6:7], s[14:15], v[108:109]
	v_add_f64 v[14:15], v[14:15], v[44:45]
	v_add_f64 v[44:45], v[26:27], v[86:87]
	v_mul_f64 v[26:27], v[114:115], s[20:21]
	v_lshl_add_u64 v[72:73], v[70:71], 4, v[0:1]
	v_add_u32_e32 v70, s0, v70
	v_add_f64 v[6:7], v[6:7], v[28:29]
	v_fma_f64 v[28:29], v[108:109], s[12:13], -v[26:27]
	global_store_dwordx4 v[72:73], v[54:57], off
	v_add_f64 v[46:47], v[28:29], v[90:91]
	v_mul_f64 v[28:29], v[112:113], s[20:21]
	v_lshl_add_u64 v[54:55], v[70:71], 4, v[0:1]
	v_add_u32_e32 v70, s0, v70
	global_store_dwordx4 v[54:55], v[66:69], off
	v_lshl_add_u64 v[54:55], v[70:71], 4, v[0:1]
	v_add_u32_e32 v70, s0, v70
	v_fma_f64 v[30:31], s[12:13], v[110:111], v[28:29]
	global_store_dwordx4 v[54:55], v[62:65], off
	v_lshl_add_u64 v[54:55], v[70:71], 4, v[0:1]
	v_add_u32_e32 v70, s0, v70
	v_add_f64 v[48:49], v[30:31], v[94:95]
	v_mul_f64 v[30:31], v[114:115], s[58:59]
	global_store_dwordx4 v[54:55], v[58:61], off
	v_lshl_add_u64 v[54:55], v[70:71], 4, v[0:1]
	v_add_u32_e32 v70, s0, v70
	v_fma_f64 v[16:17], v[110:111], s[10:11], -v[16:17]
	v_fma_f64 v[32:33], v[108:109], s[2:3], -v[30:31]
	global_store_dwordx4 v[54:55], v[34:37], off
	v_add_f64 v[16:17], v[16:17], v[50:51]
	v_fmac_f64_e32 v[18:19], s[22:23], v[108:109]
	v_lshl_add_u64 v[34:35], v[70:71], 4, v[0:1]
	v_add_u32_e32 v70, s0, v70
	v_add_f64 v[50:51], v[32:33], v[96:97]
	v_mul_f64 v[32:33], v[112:113], s[58:59]
	global_store_dwordx4 v[34:35], v[38:41], off
	v_lshl_add_u64 v[34:35], v[70:71], 4, v[0:1]
	v_add_u32_e32 v70, s0, v70
	v_add_f64 v[18:19], v[18:19], v[52:53]
	v_fma_f64 v[52:53], s[2:3], v[110:111], v[32:33]
	global_store_dwordx4 v[34:35], v[42:45], off
	v_lshl_add_u64 v[34:35], v[70:71], 4, v[0:1]
	v_add_u32_e32 v70, s0, v70
	v_add_f64 v[52:53], v[52:53], v[98:99]
	v_fmac_f64_e32 v[30:31], s[2:3], v[108:109]
	v_fma_f64 v[32:33], v[110:111], s[2:3], -v[32:33]
	global_store_dwordx4 v[34:35], v[46:49], off
	v_lshl_add_u64 v[34:35], v[70:71], 4, v[0:1]
	v_add_u32_e32 v70, s0, v70
	v_fmac_f64_e32 v[26:27], s[12:13], v[108:109]
	v_fma_f64 v[28:29], v[110:111], s[12:13], -v[28:29]
	v_add_f64 v[30:31], v[30:31], v[104:105]
	v_add_f64 v[32:33], v[32:33], v[106:107]
	global_store_dwordx4 v[34:35], v[50:53], off
	v_lshl_add_u64 v[34:35], v[70:71], 4, v[0:1]
	v_add_u32_e32 v70, s0, v70
	v_fmac_f64_e32 v[22:23], s[4:5], v[108:109]
	v_fma_f64 v[24:25], v[110:111], s[4:5], -v[24:25]
	v_add_f64 v[26:27], v[26:27], v[88:89]
	v_add_f64 v[28:29], v[28:29], v[92:93]
	global_store_dwordx4 v[34:35], v[30:33], off
	v_add_f64 v[22:23], v[22:23], v[80:81]
	v_add_f64 v[24:25], v[24:25], v[84:85]
	v_lshl_add_u64 v[30:31], v[70:71], 4, v[0:1]
	v_add_u32_e32 v70, s0, v70
	global_store_dwordx4 v[30:31], v[26:29], off
	s_nop 1
	v_lshl_add_u64 v[26:27], v[70:71], 4, v[0:1]
	v_add_u32_e32 v70, s0, v70
	global_store_dwordx4 v[26:27], v[22:25], off
	s_nop 1
	;; [unrolled: 4-line block ×5, first 2 shown]
	v_lshl_add_u64 v[10:11], v[70:71], 4, v[0:1]
	v_add_u32_e32 v70, s0, v70
	v_lshl_add_u64 v[0:1], v[70:71], 4, v[0:1]
	global_store_dwordx4 v[10:11], v[6:9], off
	global_store_dwordx4 v[0:1], v[2:5], off
	s_endpgm
	.section	.rodata,"a",@progbits
	.p2align	6, 0x0
	.amdhsa_kernel fft_rtc_fwd_len289_factors_17_17_wgs_119_tpt_17_dp_op_CI_CI_sbrc_aligned_dirReg
		.amdhsa_group_segment_fixed_size 0
		.amdhsa_private_segment_fixed_size 0
		.amdhsa_kernarg_size 104
		.amdhsa_user_sgpr_count 2
		.amdhsa_user_sgpr_dispatch_ptr 0
		.amdhsa_user_sgpr_queue_ptr 0
		.amdhsa_user_sgpr_kernarg_segment_ptr 1
		.amdhsa_user_sgpr_dispatch_id 0
		.amdhsa_user_sgpr_kernarg_preload_length 0
		.amdhsa_user_sgpr_kernarg_preload_offset 0
		.amdhsa_user_sgpr_private_segment_size 0
		.amdhsa_uses_dynamic_stack 0
		.amdhsa_enable_private_segment 0
		.amdhsa_system_sgpr_workgroup_id_x 1
		.amdhsa_system_sgpr_workgroup_id_y 0
		.amdhsa_system_sgpr_workgroup_id_z 0
		.amdhsa_system_sgpr_workgroup_info 0
		.amdhsa_system_vgpr_workitem_id 0
		.amdhsa_next_free_vgpr 138
		.amdhsa_next_free_sgpr 62
		.amdhsa_accum_offset 140
		.amdhsa_reserve_vcc 1
		.amdhsa_float_round_mode_32 0
		.amdhsa_float_round_mode_16_64 0
		.amdhsa_float_denorm_mode_32 3
		.amdhsa_float_denorm_mode_16_64 3
		.amdhsa_dx10_clamp 1
		.amdhsa_ieee_mode 1
		.amdhsa_fp16_overflow 0
		.amdhsa_tg_split 0
		.amdhsa_exception_fp_ieee_invalid_op 0
		.amdhsa_exception_fp_denorm_src 0
		.amdhsa_exception_fp_ieee_div_zero 0
		.amdhsa_exception_fp_ieee_overflow 0
		.amdhsa_exception_fp_ieee_underflow 0
		.amdhsa_exception_fp_ieee_inexact 0
		.amdhsa_exception_int_div_zero 0
	.end_amdhsa_kernel
	.text
.Lfunc_end0:
	.size	fft_rtc_fwd_len289_factors_17_17_wgs_119_tpt_17_dp_op_CI_CI_sbrc_aligned_dirReg, .Lfunc_end0-fft_rtc_fwd_len289_factors_17_17_wgs_119_tpt_17_dp_op_CI_CI_sbrc_aligned_dirReg
                                        ; -- End function
	.section	.AMDGPU.csdata,"",@progbits
; Kernel info:
; codeLenInByte = 16136
; NumSgprs: 68
; NumVgprs: 138
; NumAgprs: 0
; TotalNumVgprs: 138
; ScratchSize: 0
; MemoryBound: 0
; FloatMode: 240
; IeeeMode: 1
; LDSByteSize: 0 bytes/workgroup (compile time only)
; SGPRBlocks: 8
; VGPRBlocks: 17
; NumSGPRsForWavesPerEU: 68
; NumVGPRsForWavesPerEU: 138
; AccumOffset: 140
; Occupancy: 3
; WaveLimiterHint : 1
; COMPUTE_PGM_RSRC2:SCRATCH_EN: 0
; COMPUTE_PGM_RSRC2:USER_SGPR: 2
; COMPUTE_PGM_RSRC2:TRAP_HANDLER: 0
; COMPUTE_PGM_RSRC2:TGID_X_EN: 1
; COMPUTE_PGM_RSRC2:TGID_Y_EN: 0
; COMPUTE_PGM_RSRC2:TGID_Z_EN: 0
; COMPUTE_PGM_RSRC2:TIDIG_COMP_CNT: 0
; COMPUTE_PGM_RSRC3_GFX90A:ACCUM_OFFSET: 34
; COMPUTE_PGM_RSRC3_GFX90A:TG_SPLIT: 0
	.text
	.p2alignl 6, 3212836864
	.fill 256, 4, 3212836864
	.type	__hip_cuid_16f4d0a748534efc,@object ; @__hip_cuid_16f4d0a748534efc
	.section	.bss,"aw",@nobits
	.globl	__hip_cuid_16f4d0a748534efc
__hip_cuid_16f4d0a748534efc:
	.byte	0                               ; 0x0
	.size	__hip_cuid_16f4d0a748534efc, 1

	.ident	"AMD clang version 19.0.0git (https://github.com/RadeonOpenCompute/llvm-project roc-6.4.0 25133 c7fe45cf4b819c5991fe208aaa96edf142730f1d)"
	.section	".note.GNU-stack","",@progbits
	.addrsig
	.addrsig_sym __hip_cuid_16f4d0a748534efc
	.amdgpu_metadata
---
amdhsa.kernels:
  - .agpr_count:     0
    .args:
      - .actual_access:  read_only
        .address_space:  global
        .offset:         0
        .size:           8
        .value_kind:     global_buffer
      - .offset:         8
        .size:           8
        .value_kind:     by_value
      - .actual_access:  read_only
        .address_space:  global
        .offset:         16
        .size:           8
        .value_kind:     global_buffer
      - .actual_access:  read_only
        .address_space:  global
        .offset:         24
        .size:           8
        .value_kind:     global_buffer
      - .actual_access:  read_only
        .address_space:  global
        .offset:         32
        .size:           8
        .value_kind:     global_buffer
      - .offset:         40
        .size:           8
        .value_kind:     by_value
      - .actual_access:  read_only
        .address_space:  global
        .offset:         48
        .size:           8
        .value_kind:     global_buffer
      - .actual_access:  read_only
        .address_space:  global
        .offset:         56
        .size:           8
        .value_kind:     global_buffer
      - .offset:         64
        .size:           4
        .value_kind:     by_value
      - .actual_access:  read_only
        .address_space:  global
        .offset:         72
        .size:           8
        .value_kind:     global_buffer
      - .actual_access:  read_only
        .address_space:  global
        .offset:         80
        .size:           8
        .value_kind:     global_buffer
      - .actual_access:  read_only
        .address_space:  global
        .offset:         88
        .size:           8
        .value_kind:     global_buffer
      - .actual_access:  write_only
        .address_space:  global
        .offset:         96
        .size:           8
        .value_kind:     global_buffer
    .group_segment_fixed_size: 0
    .kernarg_segment_align: 8
    .kernarg_segment_size: 104
    .language:       OpenCL C
    .language_version:
      - 2
      - 0
    .max_flat_workgroup_size: 119
    .name:           fft_rtc_fwd_len289_factors_17_17_wgs_119_tpt_17_dp_op_CI_CI_sbrc_aligned_dirReg
    .private_segment_fixed_size: 0
    .sgpr_count:     68
    .sgpr_spill_count: 0
    .symbol:         fft_rtc_fwd_len289_factors_17_17_wgs_119_tpt_17_dp_op_CI_CI_sbrc_aligned_dirReg.kd
    .uniform_work_group_size: 1
    .uses_dynamic_stack: false
    .vgpr_count:     138
    .vgpr_spill_count: 0
    .wavefront_size: 64
amdhsa.target:   amdgcn-amd-amdhsa--gfx950
amdhsa.version:
  - 1
  - 2
...

	.end_amdgpu_metadata
